;; amdgpu-corpus repo=ROCm/rocFFT kind=compiled arch=gfx1100 opt=O3
	.text
	.amdgcn_target "amdgcn-amd-amdhsa--gfx1100"
	.amdhsa_code_object_version 6
	.protected	bluestein_single_back_len2023_dim1_dp_op_CI_CI ; -- Begin function bluestein_single_back_len2023_dim1_dp_op_CI_CI
	.globl	bluestein_single_back_len2023_dim1_dp_op_CI_CI
	.p2align	8
	.type	bluestein_single_back_len2023_dim1_dp_op_CI_CI,@function
bluestein_single_back_len2023_dim1_dp_op_CI_CI: ; @bluestein_single_back_len2023_dim1_dp_op_CI_CI
; %bb.0:
	s_load_b128 s[16:19], s[0:1], 0x28
	v_mul_u32_u24_e32 v1, 0x227, v0
	s_mov_b32 s2, exec_lo
	v_mov_b32_e32 v7, 0
	s_delay_alu instid0(VALU_DEP_2) | instskip(NEXT) | instid1(VALU_DEP_1)
	v_lshrrev_b32_e32 v1, 16, v1
	v_add_nc_u32_e32 v6, s15, v1
	s_waitcnt lgkmcnt(0)
	s_delay_alu instid0(VALU_DEP_1)
	v_cmpx_gt_u64_e64 s[16:17], v[6:7]
	s_cbranch_execz .LBB0_10
; %bb.1:
	s_clause 0x1
	s_load_b128 s[4:7], s[0:1], 0x18
	s_load_b128 s[8:11], s[0:1], 0x0
	v_mul_lo_u16 v1, 0x77, v1
	v_mov_b32_e32 v4, v6
	s_mov_b32 s40, 0x7c9e640b
	s_mov_b32 s41, 0xbfeca52d
	;; [unrolled: 1-line block ×3, first 2 shown]
	v_sub_nc_u16 v52, v0, v1
	scratch_store_b64 off, v[4:5], off offset:64 ; 8-byte Folded Spill
	s_mov_b32 s38, 0x2a9d6da3
	s_mov_b32 s36, 0xeb564b22
	;; [unrolled: 1-line block ×3, first 2 shown]
	v_and_b32_e32 v60, 0xffff, v52
	s_mov_b32 s26, 0x6c9a05f6
	s_mov_b32 s28, 0x4363dd80
	;; [unrolled: 1-line block ×7, first 2 shown]
	s_waitcnt lgkmcnt(0)
	s_load_b128 s[12:15], s[4:5], 0x0
	s_mov_b32 s27, 0xbfe9895b
	s_mov_b32 s29, 0xbfe0d888
	;; [unrolled: 1-line block ×19, first 2 shown]
	s_waitcnt lgkmcnt(0)
	v_mad_u64_u32 v[0:1], null, s14, v6, 0
	v_mad_u64_u32 v[2:3], null, s12, v60, 0
	s_mul_i32 s2, s13, 0x770
	s_mul_hi_u32 s4, s12, 0x770
	s_mul_i32 s3, s12, 0x770
	s_add_i32 s2, s4, s2
	s_mov_b32 s53, 0x3fe9895b
	s_mov_b32 s52, s26
	s_delay_alu instid0(VALU_DEP_1) | instskip(SKIP_2) | instid1(VALU_DEP_1)
	v_mad_u64_u32 v[4:5], null, s15, v6, v[1:2]
	s_mov_b32 s14, 0xc61f0d01
	s_mov_b32 s15, 0xbfd183b1
	v_mov_b32_e32 v1, v4
	v_mad_u64_u32 v[5:6], null, s13, v60, v[3:4]
	v_lshlrev_b32_e32 v48, 4, v60
	s_mov_b32 s12, 0x6ed5f1bb
	s_delay_alu instid0(VALU_DEP_3) | instskip(SKIP_1) | instid1(VALU_DEP_2)
	v_lshlrev_b64 v[0:1], 4, v[0:1]
	s_mov_b32 s13, 0xbfe348c8
	v_add_co_u32 v50, s4, s8, v48
	s_delay_alu instid0(VALU_DEP_4) | instskip(NEXT) | instid1(VALU_DEP_3)
	v_mov_b32_e32 v3, v5
	v_add_co_u32 v0, vcc_lo, s18, v0
	s_delay_alu instid0(VALU_DEP_4) | instskip(NEXT) | instid1(VALU_DEP_3)
	v_add_co_ci_u32_e32 v1, vcc_lo, s19, v1, vcc_lo
	v_lshlrev_b64 v[2:3], 4, v[2:3]
	v_add_co_ci_u32_e64 v51, null, s9, 0, s4
	s_mov_b32 s18, 0x2b2883cd
	s_mov_b32 s19, 0x3fdc86fa
	s_delay_alu instid0(VALU_DEP_2) | instskip(NEXT) | instid1(VALU_DEP_3)
	v_add_co_u32 v4, vcc_lo, v0, v2
	v_add_co_ci_u32_e32 v5, vcc_lo, v1, v3, vcc_lo
	global_load_b128 v[22:25], v48, s[8:9]
	global_load_b128 v[0:3], v[4:5], off
	v_add_co_u32 v8, vcc_lo, v4, s3
	v_add_co_ci_u32_e32 v9, vcc_lo, s2, v5, vcc_lo
	global_load_b128 v[26:29], v48, s[8:9] offset:1904
	global_load_b128 v[4:7], v[8:9], off
	v_add_co_u32 v12, vcc_lo, v8, s3
	v_add_co_ci_u32_e32 v13, vcc_lo, s2, v9, vcc_lo
	global_load_b128 v[18:21], v48, s[8:9] offset:3808
	global_load_b128 v[8:11], v[12:13], off
	s_mov_b32 s8, 0x910ea3b9
	s_mov_b32 s9, 0xbfeb34fa
	s_waitcnt vmcnt(5)
	scratch_store_b128 off, v[22:25], off offset:172 ; 16-byte Folded Spill
	s_waitcnt vmcnt(4)
	v_mul_f64 v[14:15], v[2:3], v[24:25]
	v_mul_f64 v[16:17], v[0:1], v[24:25]
	s_waitcnt vmcnt(3)
	scratch_store_b128 off, v[26:29], off offset:236 ; 16-byte Folded Spill
	s_waitcnt vmcnt(1)
	scratch_store_b128 off, v[18:21], off offset:140 ; 16-byte Folded Spill
	v_fma_f64 v[68:69], v[0:1], v[22:23], v[14:15]
	v_fma_f64 v[70:71], v[2:3], v[22:23], -v[16:17]
	v_mul_f64 v[0:1], v[6:7], v[28:29]
	v_mul_f64 v[2:3], v[4:5], v[28:29]
	s_delay_alu instid0(VALU_DEP_2) | instskip(NEXT) | instid1(VALU_DEP_2)
	v_fma_f64 v[72:73], v[4:5], v[26:27], v[0:1]
	v_fma_f64 v[74:75], v[6:7], v[26:27], -v[2:3]
	s_waitcnt vmcnt(0)
	v_mul_f64 v[0:1], v[10:11], v[20:21]
	v_mul_f64 v[2:3], v[8:9], v[20:21]
	v_add_co_u32 v4, vcc_lo, 0x1000, v50
	v_add_co_ci_u32_e32 v5, vcc_lo, 0, v51, vcc_lo
	v_add_co_u32 v6, vcc_lo, v12, s3
	v_add_co_ci_u32_e32 v7, vcc_lo, s2, v13, vcc_lo
	v_fma_f64 v[76:77], v[8:9], v[18:19], v[0:1]
	v_fma_f64 v[78:79], v[10:11], v[18:19], -v[2:3]
	global_load_b128 v[12:15], v[4:5], off offset:1616
	global_load_b128 v[0:3], v[6:7], off
	v_add_co_u32 v6, vcc_lo, v6, s3
	v_add_co_ci_u32_e32 v7, vcc_lo, s2, v7, vcc_lo
	s_waitcnt vmcnt(1)
	scratch_store_b128 off, v[12:15], off offset:204 ; 16-byte Folded Spill
	s_waitcnt vmcnt(0)
	v_mul_f64 v[8:9], v[2:3], v[14:15]
	v_mul_f64 v[10:11], v[0:1], v[14:15]
	s_delay_alu instid0(VALU_DEP_2) | instskip(NEXT) | instid1(VALU_DEP_2)
	v_fma_f64 v[80:81], v[0:1], v[12:13], v[8:9]
	v_fma_f64 v[82:83], v[2:3], v[12:13], -v[10:11]
	global_load_b128 v[10:13], v[4:5], off offset:3520
	global_load_b128 v[0:3], v[6:7], off
	s_waitcnt vmcnt(1)
	scratch_store_b128 off, v[10:13], off offset:188 ; 16-byte Folded Spill
	s_waitcnt vmcnt(0)
	v_mul_f64 v[4:5], v[2:3], v[12:13]
	v_mul_f64 v[8:9], v[0:1], v[12:13]
	s_delay_alu instid0(VALU_DEP_2)
	v_fma_f64 v[84:85], v[0:1], v[10:11], v[4:5]
	v_add_co_u32 v4, vcc_lo, v6, s3
	v_add_co_ci_u32_e32 v5, vcc_lo, s2, v7, vcc_lo
	v_add_co_u32 v6, vcc_lo, 0x2000, v50
	v_add_co_ci_u32_e32 v7, vcc_lo, 0, v51, vcc_lo
	v_fma_f64 v[86:87], v[2:3], v[10:11], -v[8:9]
	global_load_b128 v[12:15], v[6:7], off offset:1328
	global_load_b128 v[0:3], v[4:5], off
	v_add_co_u32 v4, vcc_lo, v4, s3
	v_add_co_ci_u32_e32 v5, vcc_lo, s2, v5, vcc_lo
	s_waitcnt vmcnt(1)
	scratch_store_b128 off, v[12:15], off offset:268 ; 16-byte Folded Spill
	s_waitcnt vmcnt(0)
	v_mul_f64 v[8:9], v[2:3], v[14:15]
	v_mul_f64 v[10:11], v[0:1], v[14:15]
	s_delay_alu instid0(VALU_DEP_2) | instskip(NEXT) | instid1(VALU_DEP_2)
	v_fma_f64 v[88:89], v[0:1], v[12:13], v[8:9]
	v_fma_f64 v[90:91], v[2:3], v[12:13], -v[10:11]
	global_load_b128 v[10:13], v[6:7], off offset:3232
	global_load_b128 v[0:3], v[4:5], off
	v_add_co_u32 v4, vcc_lo, v4, s3
	v_add_co_ci_u32_e32 v5, vcc_lo, s2, v5, vcc_lo
	s_waitcnt vmcnt(1)
	scratch_store_b128 off, v[10:13], off offset:76 ; 16-byte Folded Spill
	s_waitcnt vmcnt(0)
	v_mul_f64 v[6:7], v[2:3], v[12:13]
	v_mul_f64 v[8:9], v[0:1], v[12:13]
	s_delay_alu instid0(VALU_DEP_2) | instskip(SKIP_2) | instid1(VALU_DEP_4)
	v_fma_f64 v[92:93], v[0:1], v[10:11], v[6:7]
	v_add_co_u32 v6, vcc_lo, 0x3000, v50
	v_add_co_ci_u32_e32 v7, vcc_lo, 0, v51, vcc_lo
	v_fma_f64 v[94:95], v[2:3], v[10:11], -v[8:9]
	global_load_b128 v[12:15], v[6:7], off offset:1040
	global_load_b128 v[0:3], v[4:5], off
	v_add_co_u32 v4, vcc_lo, v4, s3
	v_add_co_ci_u32_e32 v5, vcc_lo, s2, v5, vcc_lo
	s_waitcnt vmcnt(1)
	scratch_store_b128 off, v[12:15], off offset:92 ; 16-byte Folded Spill
	s_waitcnt vmcnt(0)
	v_mul_f64 v[8:9], v[2:3], v[14:15]
	v_mul_f64 v[10:11], v[0:1], v[14:15]
	s_delay_alu instid0(VALU_DEP_2) | instskip(NEXT) | instid1(VALU_DEP_2)
	v_fma_f64 v[96:97], v[0:1], v[12:13], v[8:9]
	v_fma_f64 v[98:99], v[2:3], v[12:13], -v[10:11]
	global_load_b128 v[10:13], v[6:7], off offset:2944
	global_load_b128 v[0:3], v[4:5], off
	s_waitcnt vmcnt(1)
	scratch_store_b128 off, v[10:13], off offset:108 ; 16-byte Folded Spill
	s_waitcnt vmcnt(0)
	v_mul_f64 v[6:7], v[2:3], v[12:13]
	v_mul_f64 v[8:9], v[0:1], v[12:13]
	v_add_co_u32 v12, vcc_lo, v4, s3
	v_add_co_ci_u32_e32 v13, vcc_lo, s2, v5, vcc_lo
	v_add_co_u32 v14, vcc_lo, 0x4000, v50
	v_add_co_ci_u32_e32 v15, vcc_lo, 0, v51, vcc_lo
	v_fma_f64 v[0:1], v[0:1], v[10:11], v[6:7]
	global_load_b128 v[16:19], v[14:15], off offset:752
	global_load_b128 v[4:7], v[12:13], off
	v_fma_f64 v[2:3], v[2:3], v[10:11], -v[8:9]
	s_waitcnt vmcnt(1)
	scratch_store_b128 off, v[16:19], off offset:124 ; 16-byte Folded Spill
	s_waitcnt vmcnt(0)
	v_mul_f64 v[8:9], v[6:7], v[18:19]
	v_mul_f64 v[10:11], v[4:5], v[18:19]
	s_delay_alu instid0(VALU_DEP_2) | instskip(NEXT) | instid1(VALU_DEP_2)
	v_fma_f64 v[8:9], v[4:5], v[16:17], v[8:9]
	v_fma_f64 v[10:11], v[6:7], v[16:17], -v[10:11]
	v_add_co_u32 v16, vcc_lo, v12, s3
	v_add_co_ci_u32_e32 v17, vcc_lo, s2, v13, vcc_lo
	global_load_b128 v[18:21], v[14:15], off offset:2656
	global_load_b128 v[4:7], v[16:17], off
	s_waitcnt vmcnt(1)
	scratch_store_b128 off, v[18:21], off offset:156 ; 16-byte Folded Spill
	s_waitcnt vmcnt(0)
	v_mul_f64 v[12:13], v[6:7], v[20:21]
	v_mul_f64 v[14:15], v[4:5], v[20:21]
	v_add_co_u32 v20, vcc_lo, v16, s3
	v_add_co_ci_u32_e32 v21, vcc_lo, s2, v17, vcc_lo
	v_add_co_u32 v22, vcc_lo, 0x5000, v50
	v_add_co_ci_u32_e32 v23, vcc_lo, 0, v51, vcc_lo
	v_fma_f64 v[12:13], v[4:5], v[18:19], v[12:13]
	v_fma_f64 v[14:15], v[6:7], v[18:19], -v[14:15]
	global_load_b128 v[24:27], v[22:23], off offset:464
	global_load_b128 v[4:7], v[20:21], off
	s_waitcnt vmcnt(1)
	scratch_store_b128 off, v[24:27], off offset:220 ; 16-byte Folded Spill
	s_waitcnt vmcnt(0)
	v_mul_f64 v[16:17], v[6:7], v[26:27]
	v_mul_f64 v[18:19], v[4:5], v[26:27]
	s_delay_alu instid0(VALU_DEP_2) | instskip(NEXT) | instid1(VALU_DEP_2)
	v_fma_f64 v[16:17], v[4:5], v[24:25], v[16:17]
	v_fma_f64 v[18:19], v[6:7], v[24:25], -v[18:19]
	v_add_co_u32 v24, vcc_lo, v20, s3
	v_add_co_ci_u32_e32 v25, vcc_lo, s2, v21, vcc_lo
	global_load_b128 v[26:29], v[22:23], off offset:2368
	global_load_b128 v[4:7], v[24:25], off
	s_waitcnt vmcnt(1)
	scratch_store_b128 off, v[26:29], off offset:252 ; 16-byte Folded Spill
	s_waitcnt vmcnt(0)
	v_mul_f64 v[20:21], v[6:7], v[28:29]
	v_mul_f64 v[22:23], v[4:5], v[28:29]
	v_add_co_u32 v28, vcc_lo, v24, s3
	v_add_co_ci_u32_e32 v29, vcc_lo, s2, v25, vcc_lo
	v_add_co_u32 v32, vcc_lo, 0x6000, v50
	v_add_co_ci_u32_e32 v33, vcc_lo, 0, v51, vcc_lo
	v_fma_f64 v[20:21], v[4:5], v[26:27], v[20:21]
	v_fma_f64 v[22:23], v[6:7], v[26:27], -v[22:23]
	global_load_b128 v[34:37], v[32:33], off offset:176
	global_load_b128 v[4:7], v[28:29], off
	s_waitcnt vmcnt(1)
	scratch_store_b128 off, v[34:37], off offset:284 ; 16-byte Folded Spill
	s_waitcnt vmcnt(0)
	v_mul_f64 v[24:25], v[6:7], v[36:37]
	v_mul_f64 v[26:27], v[4:5], v[36:37]
	s_delay_alu instid0(VALU_DEP_2) | instskip(NEXT) | instid1(VALU_DEP_2)
	v_fma_f64 v[24:25], v[4:5], v[34:35], v[24:25]
	v_fma_f64 v[26:27], v[6:7], v[34:35], -v[26:27]
	v_add_co_u32 v34, vcc_lo, v28, s3
	v_add_co_ci_u32_e32 v35, vcc_lo, s2, v29, vcc_lo
	global_load_b128 v[36:39], v[32:33], off offset:2080
	global_load_b128 v[4:7], v[34:35], off
	s_waitcnt vmcnt(1)
	scratch_store_b128 off, v[36:39], off offset:300 ; 16-byte Folded Spill
	s_waitcnt vmcnt(0)
	v_mul_f64 v[28:29], v[6:7], v[38:39]
	v_mul_f64 v[30:31], v[4:5], v[38:39]
	s_delay_alu instid0(VALU_DEP_2) | instskip(NEXT) | instid1(VALU_DEP_2)
	v_fma_f64 v[28:29], v[4:5], v[36:37], v[28:29]
	v_fma_f64 v[30:31], v[6:7], v[36:37], -v[30:31]
	v_add_co_u32 v36, vcc_lo, v34, s3
	v_add_co_ci_u32_e32 v37, vcc_lo, s2, v35, vcc_lo
	global_load_b128 v[38:41], v[32:33], off offset:3984
	global_load_b128 v[4:7], v[36:37], off
	s_waitcnt vmcnt(0)
	v_mul_f64 v[34:35], v[4:5], v[40:41]
	v_mul_f64 v[32:33], v[6:7], v[40:41]
	s_delay_alu instid0(VALU_DEP_2) | instskip(SKIP_2) | instid1(VALU_DEP_4)
	v_fma_f64 v[34:35], v[6:7], v[38:39], -v[34:35]
	v_add_co_u32 v6, vcc_lo, v36, s3
	v_add_co_ci_u32_e32 v7, vcc_lo, s2, v37, vcc_lo
	v_fma_f64 v[32:33], v[4:5], v[38:39], v[32:33]
	v_add_co_u32 v4, vcc_lo, 0x7000, v50
	v_add_co_ci_u32_e32 v5, vcc_lo, 0, v51, vcc_lo
	s_mov_b32 s2, 0x7faef3
	s_mov_b32 s3, 0xbfef7484
	v_cmp_gt_u16_e32 vcc_lo, 51, v52
	global_load_b128 v[42:45], v[4:5], off offset:1792
	scratch_store_b128 off, v[38:41], off offset:316 ; 16-byte Folded Spill
	global_load_b128 v[36:39], v[6:7], off
	scratch_store_b64 off, v[4:5], off offset:356 ; 8-byte Folded Spill
	v_mul_lo_u16 v4, v52, 17
	s_delay_alu instid0(VALU_DEP_1) | instskip(NEXT) | instid1(VALU_DEP_1)
	v_and_b32_e32 v4, 0xffff, v4
	v_lshlrev_b32_e32 v49, 4, v4
	s_waitcnt vmcnt(1)
	scratch_store_b128 off, v[42:45], off offset:332 ; 16-byte Folded Spill
	s_waitcnt vmcnt(0)
	v_mul_f64 v[6:7], v[38:39], v[44:45]
	v_mul_f64 v[40:41], v[36:37], v[44:45]
	s_delay_alu instid0(VALU_DEP_2) | instskip(NEXT) | instid1(VALU_DEP_2)
	v_fma_f64 v[36:37], v[36:37], v[42:43], v[6:7]
	v_fma_f64 v[38:39], v[38:39], v[42:43], -v[40:41]
	ds_store_b128 v48, v[68:71]
	ds_store_b128 v48, v[72:75] offset:1904
	ds_store_b128 v48, v[76:79] offset:3808
	;; [unrolled: 1-line block ×16, first 2 shown]
	s_load_b128 s[4:7], s[6:7], 0x0
	s_waitcnt lgkmcnt(0)
	s_waitcnt_vscnt null, 0x0
	s_barrier
	buffer_gl0_inv
	ds_load_b128 v[68:71], v48
	ds_load_b128 v[72:75], v48 offset:1904
	ds_load_b128 v[76:79], v48 offset:3808
	;; [unrolled: 1-line block ×9, first 2 shown]
	s_waitcnt lgkmcnt(8)
	v_add_f64 v[0:1], v[68:69], v[72:73]
	v_add_f64 v[2:3], v[70:71], v[74:75]
	s_waitcnt lgkmcnt(0)
	v_add_f64 v[6:7], v[100:101], v[104:105]
	v_add_f64 v[8:9], v[102:103], v[106:107]
	v_add_f64 v[120:121], v[100:101], -v[104:105]
	v_add_f64 v[132:133], v[102:103], -v[106:107]
	v_add_f64 v[0:1], v[0:1], v[76:77]
	v_add_f64 v[2:3], v[2:3], v[78:79]
	s_delay_alu instid0(VALU_DEP_3) | instskip(NEXT) | instid1(VALU_DEP_3)
	v_mul_f64 v[194:195], v[132:133], s[44:45]
	v_add_f64 v[0:1], v[0:1], v[80:81]
	s_delay_alu instid0(VALU_DEP_3) | instskip(NEXT) | instid1(VALU_DEP_2)
	v_add_f64 v[2:3], v[2:3], v[82:83]
	v_add_f64 v[0:1], v[0:1], v[84:85]
	s_delay_alu instid0(VALU_DEP_2) | instskip(NEXT) | instid1(VALU_DEP_2)
	v_add_f64 v[2:3], v[2:3], v[86:87]
	v_add_f64 v[0:1], v[0:1], v[88:89]
	s_delay_alu instid0(VALU_DEP_2) | instskip(NEXT) | instid1(VALU_DEP_2)
	;; [unrolled: 3-line block ×5, first 2 shown]
	v_add_f64 v[2:3], v[2:3], v[102:103]
	v_add_f64 v[14:15], v[0:1], v[104:105]
	s_delay_alu instid0(VALU_DEP_2)
	v_add_f64 v[16:17], v[2:3], v[106:107]
	ds_load_b128 v[0:3], v48 offset:19040
	s_waitcnt lgkmcnt(0)
	v_add_f64 v[10:11], v[96:97], v[0:1]
	v_add_f64 v[12:13], v[98:99], v[2:3]
	v_add_f64 v[134:135], v[96:97], -v[0:1]
	v_add_f64 v[36:37], v[98:99], -v[2:3]
	v_add_f64 v[18:19], v[14:15], v[0:1]
	v_add_f64 v[20:21], v[16:17], v[2:3]
	ds_load_b128 v[0:3], v48 offset:20944
	s_waitcnt lgkmcnt(0)
	v_add_f64 v[14:15], v[92:93], v[0:1]
	v_add_f64 v[16:17], v[94:95], v[2:3]
	v_add_f64 v[38:39], v[92:93], -v[0:1]
	v_add_f64 v[136:137], v[94:95], -v[2:3]
	v_mul_f64 v[190:191], v[36:37], s[42:43]
	v_mul_f64 v[192:193], v[134:135], s[42:43]
	v_add_f64 v[22:23], v[18:19], v[0:1]
	v_add_f64 v[24:25], v[20:21], v[2:3]
	ds_load_b128 v[0:3], v48 offset:22848
	s_waitcnt lgkmcnt(0)
	v_add_f64 v[18:19], v[88:89], v[0:1]
	v_add_f64 v[20:21], v[90:91], v[2:3]
	v_add_f64 v[138:139], v[88:89], -v[0:1]
	v_add_f64 v[140:141], v[90:91], -v[2:3]
	v_mul_f64 v[186:187], v[136:137], s[48:49]
	v_mul_f64 v[188:189], v[38:39], s[48:49]
	;; [unrolled: 10-line block ×3, first 2 shown]
	v_add_f64 v[30:31], v[26:27], v[0:1]
	v_add_f64 v[32:33], v[28:29], v[2:3]
	ds_load_b128 v[0:3], v48 offset:26656
	s_waitcnt lgkmcnt(0)
	v_add_f64 v[26:27], v[80:81], v[0:1]
	v_add_f64 v[28:29], v[82:83], v[2:3]
	v_add_f64 v[146:147], v[80:81], -v[0:1]
	v_add_f64 v[148:149], v[82:83], -v[2:3]
	v_mul_f64 v[180:181], v[142:143], s[34:35]
	v_add_f64 v[34:35], v[30:31], v[0:1]
	v_add_f64 v[32:33], v[32:33], v[2:3]
	ds_load_b128 v[0:3], v48 offset:28560
	s_waitcnt lgkmcnt(0)
	v_add_f64 v[30:31], v[76:77], v[0:1]
	v_add_f64 v[80:81], v[78:79], v[2:3]
	v_add_f64 v[150:151], v[76:77], -v[0:1]
	v_add_f64 v[152:153], v[78:79], -v[2:3]
	v_add_f64 v[34:35], v[34:35], v[0:1]
	v_add_f64 v[32:33], v[32:33], v[2:3]
	ds_load_b128 v[0:3], v48 offset:30464
	s_waitcnt lgkmcnt(0)
	s_barrier
	buffer_gl0_inv
	v_add_f64 v[40:41], v[74:75], -v[2:3]
	v_add_f64 v[42:43], v[72:73], v[0:1]
	v_add_f64 v[44:45], v[74:75], v[2:3]
	v_add_f64 v[46:47], v[72:73], -v[0:1]
	v_add_f64 v[72:73], v[34:35], v[0:1]
	v_add_f64 v[74:75], v[32:33], v[2:3]
	v_mul_f64 v[32:33], v[40:41], s[40:41]
	v_mul_f64 v[0:1], v[40:41], s[30:31]
	;; [unrolled: 1-line block ×11, first 2 shown]
	v_fma_f64 v[82:83], v[42:43], s[18:19], -v[32:33]
	v_fma_f64 v[92:93], v[42:43], s[18:19], v[32:33]
	v_mul_f64 v[32:33], v[46:47], s[30:31]
	v_fma_f64 v[76:77], v[42:43], s[22:23], -v[0:1]
	v_fma_f64 v[0:1], v[42:43], s[22:23], v[0:1]
	v_fma_f64 v[78:79], v[42:43], s[20:21], -v[2:3]
	v_fma_f64 v[2:3], v[42:43], s[20:21], v[2:3]
	;; [unrolled: 2-line block ×7, first 2 shown]
	v_mul_f64 v[34:35], v[46:47], s[38:39]
	v_mul_f64 v[40:41], v[46:47], s[40:41]
	;; [unrolled: 1-line block ×4, first 2 shown]
	v_fma_f64 v[122:123], v[44:45], s[14:15], v[84:85]
	v_fma_f64 v[124:125], v[44:45], s[14:15], -v[84:85]
	v_fma_f64 v[126:127], v[44:45], s[12:13], v[86:87]
	v_fma_f64 v[128:129], v[44:45], s[12:13], -v[86:87]
	;; [unrolled: 2-line block ×4, first 2 shown]
	v_add_f64 v[32:33], v[68:69], v[0:1]
	v_add_f64 v[86:87], v[68:69], v[78:79]
	;; [unrolled: 1-line block ×4, first 2 shown]
	v_mul_f64 v[102:103], v[146:147], s[26:27]
	v_add_f64 v[176:177], v[68:69], v[108:109]
	v_mul_f64 v[108:109], v[150:151], s[38:39]
	v_add_f64 v[168:169], v[68:69], v[110:111]
	;; [unrolled: 2-line block ×3, first 2 shown]
	v_mul_f64 v[112:113], v[146:147], s[40:41]
	v_fma_f64 v[98:99], v[44:45], s[20:21], v[34:35]
	v_fma_f64 v[104:105], v[44:45], s[20:21], -v[34:35]
	v_fma_f64 v[106:107], v[44:45], s[18:19], v[40:41]
	v_fma_f64 v[40:41], v[44:45], s[18:19], -v[40:41]
	;; [unrolled: 2-line block ×4, first 2 shown]
	v_add_f64 v[46:47], v[68:69], v[76:77]
	v_add_f64 v[162:163], v[70:71], v[154:155]
	;; [unrolled: 1-line block ×3, first 2 shown]
	v_mul_f64 v[122:123], v[138:139], s[24:25]
	v_add_f64 v[174:175], v[70:71], v[126:127]
	v_mul_f64 v[126:127], v[38:39], s[26:27]
	v_add_f64 v[170:171], v[70:71], v[128:129]
	;; [unrolled: 2-line block ×4, first 2 shown]
	v_add_f64 v[42:43], v[68:69], v[100:101]
	v_add_f64 v[164:165], v[68:69], v[57:58]
	v_mul_f64 v[57:58], v[150:151], s[36:37]
	v_mul_f64 v[100:101], v[148:149], s[26:27]
	v_add_f64 v[178:179], v[70:71], v[90:91]
	v_add_f64 v[90:91], v[68:69], v[82:83]
	v_mul_f64 v[82:83], v[152:153], s[38:39]
	v_add_f64 v[34:35], v[70:71], v[94:95]
	v_add_f64 v[94:95], v[68:69], v[92:93]
	;; [unrolled: 1-line block ×6, first 2 shown]
	v_fma_f64 v[53:54], v[26:27], s[18:19], -v[110:111]
	v_add_f64 v[96:97], v[70:71], v[116:117]
	v_add_f64 v[158:159], v[70:71], v[156:157]
	v_add_f64 v[154:155], v[70:71], v[44:45]
	v_add_f64 v[156:157], v[68:69], v[114:115]
	v_mul_f64 v[114:115], v[144:145], s[36:37]
	v_mul_f64 v[116:117], v[142:143], s[36:37]
	v_add_f64 v[92:93], v[70:71], v[40:41]
	v_add_f64 v[40:41], v[70:71], v[118:119]
	v_mul_f64 v[118:119], v[140:141], s[24:25]
	v_add_f64 v[76:77], v[70:71], v[104:105]
	v_add_f64 v[104:105], v[70:71], v[124:125]
	v_mul_f64 v[124:125], v[136:137], s[26:27]
	v_fma_f64 v[44:45], v[30:31], s[20:21], -v[82:83]
	s_delay_alu instid0(VALU_DEP_1) | instskip(SKIP_1) | instid1(VALU_DEP_2)
	v_add_f64 v[44:45], v[44:45], v[46:47]
	v_fma_f64 v[46:47], v[80:81], s[20:21], v[108:109]
	v_add_f64 v[44:45], v[53:54], v[44:45]
	s_delay_alu instid0(VALU_DEP_2) | instskip(SKIP_2) | instid1(VALU_DEP_2)
	v_add_f64 v[46:47], v[46:47], v[178:179]
	v_fma_f64 v[53:54], v[28:29], s[18:19], v[112:113]
	v_mul_f64 v[178:179], v[144:145], s[34:35]
	v_add_f64 v[46:47], v[53:54], v[46:47]
	v_fma_f64 v[53:54], v[22:23], s[16:17], -v[114:115]
	s_delay_alu instid0(VALU_DEP_1) | instskip(SKIP_1) | instid1(VALU_DEP_1)
	v_add_f64 v[44:45], v[53:54], v[44:45]
	v_fma_f64 v[53:54], v[24:25], s[16:17], v[116:117]
	v_add_f64 v[46:47], v[53:54], v[46:47]
	v_fma_f64 v[53:54], v[18:19], s[14:15], -v[118:119]
	s_delay_alu instid0(VALU_DEP_1) | instskip(SKIP_1) | instid1(VALU_DEP_1)
	v_add_f64 v[44:45], v[53:54], v[44:45]
	v_fma_f64 v[53:54], v[20:21], s[14:15], v[122:123]
	v_add_f64 v[46:47], v[53:54], v[46:47]
	v_fma_f64 v[53:54], v[14:15], s[12:13], -v[124:125]
	s_delay_alu instid0(VALU_DEP_1) | instskip(SKIP_1) | instid1(VALU_DEP_1)
	v_add_f64 v[44:45], v[53:54], v[44:45]
	v_fma_f64 v[53:54], v[16:17], s[12:13], v[126:127]
	v_add_f64 v[46:47], v[53:54], v[46:47]
	v_fma_f64 v[53:54], v[10:11], s[8:9], -v[128:129]
	s_delay_alu instid0(VALU_DEP_1) | instskip(SKIP_1) | instid1(VALU_DEP_1)
	v_add_f64 v[53:54], v[53:54], v[44:45]
	v_fma_f64 v[44:45], v[12:13], s[8:9], v[130:131]
	v_add_f64 v[55:56], v[44:45], v[46:47]
	v_mul_f64 v[44:45], v[132:133], s[34:35]
	s_delay_alu instid0(VALU_DEP_1) | instskip(NEXT) | instid1(VALU_DEP_1)
	v_fma_f64 v[46:47], v[6:7], s[2:3], -v[44:45]
	v_add_f64 v[68:69], v[46:47], v[53:54]
	v_mul_f64 v[46:47], v[120:121], s[34:35]
	s_delay_alu instid0(VALU_DEP_1) | instskip(NEXT) | instid1(VALU_DEP_1)
	v_fma_f64 v[53:54], v[8:9], s[2:3], v[46:47]
	v_add_f64 v[70:71], v[53:54], v[55:56]
	v_mul_f64 v[53:54], v[152:153], s[36:37]
	s_delay_alu instid0(VALU_DEP_1) | instskip(SKIP_1) | instid1(VALU_DEP_2)
	v_fma_f64 v[55:56], v[30:31], s[16:17], -v[53:54]
	v_fma_f64 v[53:54], v[30:31], s[16:17], v[53:54]
	v_add_f64 v[55:56], v[55:56], v[86:87]
	v_fma_f64 v[86:87], v[80:81], s[16:17], v[57:58]
	v_fma_f64 v[57:58], v[80:81], s[16:17], -v[57:58]
	s_delay_alu instid0(VALU_DEP_4) | instskip(NEXT) | instid1(VALU_DEP_3)
	v_add_f64 v[53:54], v[53:54], v[78:79]
	v_add_f64 v[84:85], v[86:87], v[84:85]
	v_fma_f64 v[86:87], v[26:27], s[12:13], -v[100:101]
	s_delay_alu instid0(VALU_DEP_4) | instskip(SKIP_2) | instid1(VALU_DEP_4)
	v_add_f64 v[57:58], v[57:58], v[76:77]
	v_fma_f64 v[76:77], v[26:27], s[12:13], v[100:101]
	v_mul_f64 v[100:101], v[148:149], s[46:47]
	v_add_f64 v[55:56], v[86:87], v[55:56]
	v_fma_f64 v[86:87], v[28:29], s[12:13], v[102:103]
	s_delay_alu instid0(VALU_DEP_4) | instskip(SKIP_4) | instid1(VALU_DEP_4)
	v_add_f64 v[53:54], v[76:77], v[53:54]
	v_fma_f64 v[76:77], v[28:29], s[12:13], -v[102:103]
	v_mul_f64 v[102:103], v[146:147], s[46:47]
	s_mov_b32 s47, 0x3fe58eea
	s_mov_b32 s46, s38
	v_add_f64 v[84:85], v[86:87], v[84:85]
	v_fma_f64 v[86:87], v[22:23], s[2:3], -v[178:179]
	s_delay_alu instid0(VALU_DEP_4) | instskip(SKIP_2) | instid1(VALU_DEP_4)
	v_add_f64 v[57:58], v[76:77], v[57:58]
	v_fma_f64 v[76:77], v[22:23], s[2:3], v[178:179]
	v_mul_f64 v[178:179], v[144:145], s[48:49]
	v_add_f64 v[55:56], v[86:87], v[55:56]
	v_fma_f64 v[86:87], v[24:25], s[2:3], v[180:181]
	s_delay_alu instid0(VALU_DEP_4) | instskip(SKIP_2) | instid1(VALU_DEP_4)
	v_add_f64 v[53:54], v[76:77], v[53:54]
	v_fma_f64 v[76:77], v[24:25], s[2:3], -v[180:181]
	v_mul_f64 v[180:181], v[142:143], s[48:49]
	v_add_f64 v[84:85], v[86:87], v[84:85]
	v_fma_f64 v[86:87], v[18:19], s[8:9], -v[182:183]
	s_delay_alu instid0(VALU_DEP_4) | instskip(SKIP_2) | instid1(VALU_DEP_4)
	v_add_f64 v[57:58], v[76:77], v[57:58]
	v_fma_f64 v[76:77], v[18:19], s[8:9], v[182:183]
	v_mul_f64 v[182:183], v[140:141], s[46:47]
	v_add_f64 v[55:56], v[86:87], v[55:56]
	v_fma_f64 v[86:87], v[20:21], s[8:9], v[184:185]
	s_delay_alu instid0(VALU_DEP_4) | instskip(SKIP_2) | instid1(VALU_DEP_4)
	v_add_f64 v[53:54], v[76:77], v[53:54]
	v_fma_f64 v[76:77], v[20:21], s[8:9], -v[184:185]
	v_mul_f64 v[184:185], v[138:139], s[46:47]
	;; [unrolled: 12-line block ×4, first 2 shown]
	v_add_f64 v[86:87], v[86:87], v[84:85]
	v_fma_f64 v[84:85], v[6:7], s[22:23], -v[194:195]
	s_delay_alu instid0(VALU_DEP_4) | instskip(SKIP_2) | instid1(VALU_DEP_4)
	v_add_f64 v[57:58], v[76:77], v[57:58]
	v_fma_f64 v[76:77], v[6:7], s[22:23], v[194:195]
	v_mul_f64 v[194:195], v[132:133], s[28:29]
	v_add_f64 v[84:85], v[84:85], v[55:56]
	v_mul_f64 v[55:56], v[120:121], s[44:45]
	s_delay_alu instid0(VALU_DEP_4) | instskip(SKIP_1) | instid1(VALU_DEP_3)
	v_add_f64 v[76:77], v[76:77], v[53:54]
	v_mul_f64 v[53:54], v[152:153], s[26:27]
	v_fma_f64 v[196:197], v[8:9], s[22:23], v[55:56]
	v_fma_f64 v[55:56], v[8:9], s[22:23], -v[55:56]
	s_delay_alu instid0(VALU_DEP_2) | instskip(NEXT) | instid1(VALU_DEP_2)
	v_add_f64 v[86:87], v[196:197], v[86:87]
	v_add_f64 v[78:79], v[55:56], v[57:58]
	v_fma_f64 v[55:56], v[30:31], s[12:13], -v[53:54]
	v_mul_f64 v[57:58], v[150:151], s[26:27]
	v_fma_f64 v[53:54], v[30:31], s[12:13], v[53:54]
	s_delay_alu instid0(VALU_DEP_3) | instskip(NEXT) | instid1(VALU_DEP_3)
	v_add_f64 v[55:56], v[55:56], v[90:91]
	v_fma_f64 v[90:91], v[80:81], s[12:13], v[57:58]
	v_fma_f64 v[57:58], v[80:81], s[12:13], -v[57:58]
	s_delay_alu instid0(VALU_DEP_4) | instskip(NEXT) | instid1(VALU_DEP_3)
	v_add_f64 v[53:54], v[53:54], v[94:95]
	v_add_f64 v[88:89], v[90:91], v[88:89]
	v_fma_f64 v[90:91], v[26:27], s[2:3], -v[100:101]
	s_delay_alu instid0(VALU_DEP_4) | instskip(SKIP_1) | instid1(VALU_DEP_3)
	v_add_f64 v[57:58], v[57:58], v[92:93]
	v_fma_f64 v[92:93], v[26:27], s[2:3], v[100:101]
	v_add_f64 v[55:56], v[90:91], v[55:56]
	v_fma_f64 v[90:91], v[28:29], s[2:3], v[102:103]
	s_delay_alu instid0(VALU_DEP_3) | instskip(SKIP_1) | instid1(VALU_DEP_3)
	v_add_f64 v[53:54], v[92:93], v[53:54]
	v_fma_f64 v[92:93], v[28:29], s[2:3], -v[102:103]
	v_add_f64 v[88:89], v[90:91], v[88:89]
	v_fma_f64 v[90:91], v[22:23], s[14:15], -v[178:179]
	s_delay_alu instid0(VALU_DEP_3) | instskip(SKIP_2) | instid1(VALU_DEP_4)
	v_add_f64 v[57:58], v[92:93], v[57:58]
	v_fma_f64 v[92:93], v[22:23], s[14:15], v[178:179]
	v_mul_f64 v[178:179], v[146:147], s[48:49]
	v_add_f64 v[55:56], v[90:91], v[55:56]
	v_fma_f64 v[90:91], v[24:25], s[14:15], v[180:181]
	s_delay_alu instid0(VALU_DEP_4) | instskip(SKIP_2) | instid1(VALU_DEP_4)
	v_add_f64 v[53:54], v[92:93], v[53:54]
	v_fma_f64 v[92:93], v[24:25], s[14:15], -v[180:181]
	v_mul_f64 v[180:181], v[144:145], s[44:45]
	v_add_f64 v[88:89], v[90:91], v[88:89]
	v_fma_f64 v[90:91], v[18:19], s[20:21], -v[182:183]
	s_delay_alu instid0(VALU_DEP_4) | instskip(SKIP_2) | instid1(VALU_DEP_4)
	v_add_f64 v[57:58], v[92:93], v[57:58]
	v_fma_f64 v[92:93], v[18:19], s[20:21], v[182:183]
	v_mul_f64 v[182:183], v[142:143], s[44:45]
	v_add_f64 v[55:56], v[90:91], v[55:56]
	v_fma_f64 v[90:91], v[20:21], s[20:21], v[184:185]
	s_delay_alu instid0(VALU_DEP_4) | instskip(SKIP_2) | instid1(VALU_DEP_4)
	v_add_f64 v[53:54], v[92:93], v[53:54]
	v_fma_f64 v[92:93], v[20:21], s[20:21], -v[184:185]
	v_mul_f64 v[184:185], v[140:141], s[40:41]
	v_add_f64 v[88:89], v[90:91], v[88:89]
	v_fma_f64 v[90:91], v[14:15], s[22:23], -v[186:187]
	s_delay_alu instid0(VALU_DEP_4) | instskip(SKIP_2) | instid1(VALU_DEP_4)
	;; [unrolled: 12-line block ×4, first 2 shown]
	v_add_f64 v[57:58], v[92:93], v[57:58]
	v_fma_f64 v[92:93], v[6:7], s[8:9], v[194:195]
	v_mul_f64 v[194:195], v[134:135], s[52:53]
	v_add_f64 v[88:89], v[88:89], v[55:56]
	v_mul_f64 v[55:56], v[120:121], s[28:29]
	s_delay_alu instid0(VALU_DEP_4) | instskip(SKIP_1) | instid1(VALU_DEP_3)
	v_add_f64 v[92:93], v[92:93], v[53:54]
	v_mul_f64 v[53:54], v[152:153], s[34:35]
	v_fma_f64 v[196:197], v[8:9], s[8:9], v[55:56]
	v_fma_f64 v[55:56], v[8:9], s[8:9], -v[55:56]
	s_delay_alu instid0(VALU_DEP_2) | instskip(NEXT) | instid1(VALU_DEP_2)
	v_add_f64 v[90:91], v[196:197], v[90:91]
	v_add_f64 v[94:95], v[55:56], v[57:58]
	v_fma_f64 v[55:56], v[30:31], s[2:3], -v[53:54]
	v_mul_f64 v[57:58], v[150:151], s[34:35]
	v_fma_f64 v[53:54], v[30:31], s[2:3], v[53:54]
	v_mul_f64 v[196:197], v[132:133], s[46:47]
	s_delay_alu instid0(VALU_DEP_4) | instskip(NEXT) | instid1(VALU_DEP_4)
	v_add_f64 v[55:56], v[55:56], v[98:99]
	v_fma_f64 v[98:99], v[80:81], s[2:3], v[57:58]
	s_delay_alu instid0(VALU_DEP_4) | instskip(SKIP_1) | instid1(VALU_DEP_3)
	v_add_f64 v[42:43], v[53:54], v[42:43]
	v_fma_f64 v[53:54], v[80:81], s[2:3], -v[57:58]
	v_add_f64 v[96:97], v[98:99], v[96:97]
	v_mul_f64 v[98:99], v[148:149], s[48:49]
	s_delay_alu instid0(VALU_DEP_3) | instskip(NEXT) | instid1(VALU_DEP_2)
	v_add_f64 v[40:41], v[53:54], v[40:41]
	v_fma_f64 v[100:101], v[26:27], s[14:15], -v[98:99]
	v_fma_f64 v[53:54], v[26:27], s[14:15], v[98:99]
	s_delay_alu instid0(VALU_DEP_2) | instskip(SKIP_1) | instid1(VALU_DEP_3)
	v_add_f64 v[55:56], v[100:101], v[55:56]
	v_fma_f64 v[100:101], v[28:29], s[14:15], v[178:179]
	v_add_f64 v[42:43], v[53:54], v[42:43]
	v_fma_f64 v[53:54], v[28:29], s[14:15], -v[178:179]
	s_delay_alu instid0(VALU_DEP_3) | instskip(SKIP_1) | instid1(VALU_DEP_3)
	v_add_f64 v[96:97], v[100:101], v[96:97]
	v_fma_f64 v[100:101], v[22:23], s[22:23], -v[180:181]
	v_add_f64 v[40:41], v[53:54], v[40:41]
	v_fma_f64 v[53:54], v[22:23], s[22:23], v[180:181]
	s_delay_alu instid0(VALU_DEP_3) | instskip(SKIP_1) | instid1(VALU_DEP_3)
	v_add_f64 v[55:56], v[100:101], v[55:56]
	v_fma_f64 v[100:101], v[24:25], s[22:23], v[182:183]
	v_add_f64 v[42:43], v[53:54], v[42:43]
	v_fma_f64 v[53:54], v[24:25], s[22:23], -v[182:183]
	s_delay_alu instid0(VALU_DEP_3) | instskip(SKIP_1) | instid1(VALU_DEP_3)
	v_add_f64 v[96:97], v[100:101], v[96:97]
	v_fma_f64 v[100:101], v[18:19], s[18:19], -v[184:185]
	v_add_f64 v[40:41], v[53:54], v[40:41]
	v_fma_f64 v[53:54], v[18:19], s[18:19], v[184:185]
	s_delay_alu instid0(VALU_DEP_3) | instskip(SKIP_1) | instid1(VALU_DEP_3)
	;; [unrolled: 10-line block ×4, first 2 shown]
	v_add_f64 v[55:56], v[100:101], v[55:56]
	v_fma_f64 v[100:101], v[12:13], s[12:13], v[194:195]
	v_add_f64 v[42:43], v[53:54], v[42:43]
	v_fma_f64 v[53:54], v[12:13], s[12:13], -v[194:195]
	v_mul_f64 v[194:195], v[132:133], s[26:27]
	s_delay_alu instid0(VALU_DEP_4) | instskip(SKIP_1) | instid1(VALU_DEP_4)
	v_add_f64 v[96:97], v[100:101], v[96:97]
	v_fma_f64 v[100:101], v[6:7], s[20:21], -v[196:197]
	v_add_f64 v[40:41], v[53:54], v[40:41]
	v_fma_f64 v[53:54], v[6:7], s[20:21], v[196:197]
	v_mul_f64 v[196:197], v[120:121], s[26:27]
	s_delay_alu instid0(VALU_DEP_4) | instskip(SKIP_1) | instid1(VALU_DEP_1)
	v_add_f64 v[100:101], v[100:101], v[55:56]
	v_mul_f64 v[55:56], v[120:121], s[46:47]
	v_fma_f64 v[102:103], v[8:9], s[20:21], v[55:56]
	v_fma_f64 v[55:56], v[8:9], s[20:21], -v[55:56]
	s_delay_alu instid0(VALU_DEP_2) | instskip(NEXT) | instid1(VALU_DEP_2)
	v_add_f64 v[102:103], v[102:103], v[96:97]
	v_add_f64 v[98:99], v[55:56], v[40:41]
	v_mul_f64 v[40:41], v[152:153], s[50:51]
	v_add_f64 v[96:97], v[53:54], v[42:43]
	s_delay_alu instid0(VALU_DEP_2) | instskip(SKIP_1) | instid1(VALU_DEP_2)
	v_fma_f64 v[42:43], v[30:31], s[8:9], -v[40:41]
	v_fma_f64 v[40:41], v[30:31], s[8:9], v[40:41]
	v_add_f64 v[2:3], v[42:43], v[2:3]
	v_mul_f64 v[42:43], v[150:151], s[50:51]
	s_delay_alu instid0(VALU_DEP_3) | instskip(NEXT) | instid1(VALU_DEP_2)
	v_add_f64 v[40:41], v[40:41], v[106:107]
	v_fma_f64 v[53:54], v[80:81], s[8:9], v[42:43]
	v_fma_f64 v[42:43], v[80:81], s[8:9], -v[42:43]
	s_delay_alu instid0(VALU_DEP_2) | instskip(SKIP_1) | instid1(VALU_DEP_3)
	v_add_f64 v[0:1], v[53:54], v[0:1]
	v_mul_f64 v[53:54], v[148:149], s[46:47]
	v_add_f64 v[42:43], v[42:43], v[104:105]
	s_delay_alu instid0(VALU_DEP_2) | instskip(SKIP_1) | instid1(VALU_DEP_2)
	v_fma_f64 v[55:56], v[26:27], s[20:21], -v[53:54]
	v_fma_f64 v[53:54], v[26:27], s[20:21], v[53:54]
	v_add_f64 v[2:3], v[55:56], v[2:3]
	v_mul_f64 v[55:56], v[146:147], s[46:47]
	s_delay_alu instid0(VALU_DEP_3) | instskip(NEXT) | instid1(VALU_DEP_2)
	v_add_f64 v[40:41], v[53:54], v[40:41]
	v_fma_f64 v[57:58], v[28:29], s[20:21], v[55:56]
	v_fma_f64 v[53:54], v[28:29], s[20:21], -v[55:56]
	v_fma_f64 v[55:56], v[8:9], s[12:13], -v[196:197]
	s_delay_alu instid0(VALU_DEP_3) | instskip(SKIP_1) | instid1(VALU_DEP_4)
	v_add_f64 v[0:1], v[57:58], v[0:1]
	v_mul_f64 v[57:58], v[144:145], s[40:41]
	v_add_f64 v[42:43], v[53:54], v[42:43]
	s_delay_alu instid0(VALU_DEP_2) | instskip(SKIP_2) | instid1(VALU_DEP_3)
	v_fma_f64 v[178:179], v[22:23], s[18:19], -v[57:58]
	v_fma_f64 v[53:54], v[22:23], s[18:19], v[57:58]
	v_mul_f64 v[57:58], v[148:149], s[30:31]
	v_add_f64 v[2:3], v[178:179], v[2:3]
	v_mul_f64 v[178:179], v[142:143], s[40:41]
	s_mov_b32 s41, 0x3fefdd0d
	s_mov_b32 s40, s36
	s_delay_alu instid0(VALU_DEP_4) | instskip(NEXT) | instid1(VALU_DEP_2)
	v_add_f64 v[40:41], v[53:54], v[40:41]
	v_fma_f64 v[180:181], v[24:25], s[18:19], v[178:179]
	v_fma_f64 v[53:54], v[24:25], s[18:19], -v[178:179]
	s_delay_alu instid0(VALU_DEP_2) | instskip(SKIP_1) | instid1(VALU_DEP_3)
	v_add_f64 v[0:1], v[180:181], v[0:1]
	v_mul_f64 v[180:181], v[140:141], s[34:35]
	v_add_f64 v[42:43], v[53:54], v[42:43]
	s_delay_alu instid0(VALU_DEP_2) | instskip(SKIP_1) | instid1(VALU_DEP_2)
	v_fma_f64 v[182:183], v[18:19], s[2:3], -v[180:181]
	v_fma_f64 v[53:54], v[18:19], s[2:3], v[180:181]
	v_add_f64 v[2:3], v[182:183], v[2:3]
	v_mul_f64 v[182:183], v[138:139], s[34:35]
	s_delay_alu instid0(VALU_DEP_3) | instskip(NEXT) | instid1(VALU_DEP_2)
	v_add_f64 v[40:41], v[53:54], v[40:41]
	v_fma_f64 v[184:185], v[20:21], s[2:3], v[182:183]
	v_fma_f64 v[53:54], v[20:21], s[2:3], -v[182:183]
	s_delay_alu instid0(VALU_DEP_2) | instskip(SKIP_1) | instid1(VALU_DEP_3)
	v_add_f64 v[0:1], v[184:185], v[0:1]
	v_mul_f64 v[184:185], v[136:137], s[40:41]
	v_add_f64 v[42:43], v[53:54], v[42:43]
	s_delay_alu instid0(VALU_DEP_2) | instskip(SKIP_1) | instid1(VALU_DEP_2)
	v_fma_f64 v[186:187], v[14:15], s[16:17], -v[184:185]
	v_fma_f64 v[53:54], v[14:15], s[16:17], v[184:185]
	v_add_f64 v[2:3], v[186:187], v[2:3]
	v_mul_f64 v[186:187], v[38:39], s[40:41]
	s_delay_alu instid0(VALU_DEP_3) | instskip(NEXT) | instid1(VALU_DEP_2)
	v_add_f64 v[40:41], v[53:54], v[40:41]
	v_fma_f64 v[188:189], v[16:17], s[16:17], v[186:187]
	v_fma_f64 v[53:54], v[16:17], s[16:17], -v[186:187]
	s_delay_alu instid0(VALU_DEP_2) | instskip(SKIP_1) | instid1(VALU_DEP_3)
	v_add_f64 v[0:1], v[188:189], v[0:1]
	v_mul_f64 v[188:189], v[36:37], s[30:31]
	v_add_f64 v[42:43], v[53:54], v[42:43]
	s_delay_alu instid0(VALU_DEP_2) | instskip(SKIP_1) | instid1(VALU_DEP_2)
	v_fma_f64 v[190:191], v[10:11], s[22:23], -v[188:189]
	v_fma_f64 v[53:54], v[10:11], s[22:23], v[188:189]
	v_add_f64 v[2:3], v[190:191], v[2:3]
	v_mul_f64 v[190:191], v[134:135], s[30:31]
	s_delay_alu instid0(VALU_DEP_3) | instskip(NEXT) | instid1(VALU_DEP_2)
	v_add_f64 v[40:41], v[53:54], v[40:41]
	v_fma_f64 v[53:54], v[12:13], s[22:23], -v[190:191]
	v_fma_f64 v[192:193], v[12:13], s[22:23], v[190:191]
	s_delay_alu instid0(VALU_DEP_2) | instskip(SKIP_1) | instid1(VALU_DEP_3)
	v_add_f64 v[42:43], v[53:54], v[42:43]
	v_fma_f64 v[53:54], v[6:7], s[12:13], v[194:195]
	v_add_f64 v[192:193], v[192:193], v[0:1]
	v_fma_f64 v[0:1], v[6:7], s[12:13], -v[194:195]
	s_delay_alu instid0(VALU_DEP_4) | instskip(NEXT) | instid1(VALU_DEP_4)
	v_add_f64 v[106:107], v[55:56], v[42:43]
	v_add_f64 v[104:105], v[53:54], v[40:41]
	v_mul_f64 v[53:54], v[152:153], s[48:49]
	v_mul_f64 v[55:56], v[150:151], s[48:49]
	v_add_f64 v[0:1], v[0:1], v[2:3]
	v_fma_f64 v[2:3], v[8:9], s[12:13], v[196:197]
	s_delay_alu instid0(VALU_DEP_4) | instskip(NEXT) | instid1(VALU_DEP_4)
	v_fma_f64 v[40:41], v[30:31], s[14:15], -v[53:54]
	v_fma_f64 v[42:43], v[80:81], s[14:15], v[55:56]
	v_fma_f64 v[53:54], v[30:31], s[14:15], v[53:54]
	v_fma_f64 v[55:56], v[80:81], s[14:15], -v[55:56]
	v_add_f64 v[2:3], v[2:3], v[192:193]
	v_add_f64 v[40:41], v[40:41], v[176:177]
	;; [unrolled: 1-line block ×3, first 2 shown]
	v_fma_f64 v[174:175], v[26:27], s[22:23], -v[57:58]
	v_add_f64 v[53:54], v[53:54], v[172:173]
	v_fma_f64 v[57:58], v[26:27], s[22:23], v[57:58]
	v_add_f64 v[55:56], v[55:56], v[170:171]
	s_delay_alu instid0(VALU_DEP_4) | instskip(SKIP_1) | instid1(VALU_DEP_4)
	v_add_f64 v[40:41], v[174:175], v[40:41]
	v_mul_f64 v[174:175], v[146:147], s[30:31]
	v_add_f64 v[53:54], v[57:58], v[53:54]
	s_delay_alu instid0(VALU_DEP_2) | instskip(SKIP_3) | instid1(VALU_DEP_4)
	v_fma_f64 v[176:177], v[28:29], s[22:23], v[174:175]
	v_fma_f64 v[57:58], v[28:29], s[22:23], -v[174:175]
	v_mul_f64 v[174:175], v[148:149], s[36:37]
	v_mul_f64 v[148:149], v[148:149], s[28:29]
	v_add_f64 v[42:43], v[176:177], v[42:43]
	v_mul_f64 v[176:177], v[144:145], s[28:29]
	v_add_f64 v[55:56], v[57:58], v[55:56]
	s_delay_alu instid0(VALU_DEP_2) | instskip(SKIP_3) | instid1(VALU_DEP_4)
	v_fma_f64 v[178:179], v[22:23], s[8:9], -v[176:177]
	v_fma_f64 v[57:58], v[22:23], s[8:9], v[176:177]
	v_mul_f64 v[176:177], v[146:147], s[36:37]
	v_mul_f64 v[146:147], v[146:147], s[28:29]
	v_add_f64 v[40:41], v[178:179], v[40:41]
	v_mul_f64 v[178:179], v[142:143], s[28:29]
	v_add_f64 v[53:54], v[57:58], v[53:54]
	s_delay_alu instid0(VALU_DEP_2) | instskip(SKIP_3) | instid1(VALU_DEP_4)
	v_fma_f64 v[180:181], v[24:25], s[8:9], v[178:179]
	v_fma_f64 v[57:58], v[24:25], s[8:9], -v[178:179]
	v_mul_f64 v[178:179], v[144:145], s[52:53]
	v_mul_f64 v[144:145], v[144:145], s[46:47]
	v_add_f64 v[42:43], v[180:181], v[42:43]
	v_mul_f64 v[180:181], v[140:141], s[40:41]
	v_add_f64 v[55:56], v[57:58], v[55:56]
	s_delay_alu instid0(VALU_DEP_2) | instskip(SKIP_3) | instid1(VALU_DEP_4)
	v_fma_f64 v[182:183], v[18:19], s[16:17], -v[180:181]
	v_fma_f64 v[57:58], v[18:19], s[16:17], v[180:181]
	v_mul_f64 v[180:181], v[142:143], s[52:53]
	v_mul_f64 v[142:143], v[142:143], s[46:47]
	;; [unrolled: 16-line block ×3, first 2 shown]
	v_add_f64 v[40:41], v[186:187], v[40:41]
	v_mul_f64 v[186:187], v[38:39], s[38:39]
	v_add_f64 v[53:54], v[57:58], v[53:54]
	s_delay_alu instid0(VALU_DEP_2) | instskip(SKIP_3) | instid1(VALU_DEP_4)
	v_fma_f64 v[188:189], v[16:17], s[20:21], v[186:187]
	v_fma_f64 v[57:58], v[16:17], s[20:21], -v[186:187]
	v_mul_f64 v[186:187], v[136:137], s[34:35]
	v_mul_f64 v[136:137], v[136:137], s[42:43]
	v_add_f64 v[42:43], v[188:189], v[42:43]
	v_mul_f64 v[188:189], v[36:37], s[34:35]
	v_add_f64 v[55:56], v[57:58], v[55:56]
	s_delay_alu instid0(VALU_DEP_2) | instskip(SKIP_2) | instid1(VALU_DEP_3)
	v_fma_f64 v[190:191], v[10:11], s[2:3], -v[188:189]
	v_fma_f64 v[57:58], v[10:11], s[2:3], v[188:189]
	v_mul_f64 v[188:189], v[38:39], s[34:35]
	v_add_f64 v[40:41], v[190:191], v[40:41]
	v_mul_f64 v[190:191], v[134:135], s[34:35]
	s_delay_alu instid0(VALU_DEP_4) | instskip(NEXT) | instid1(VALU_DEP_2)
	v_add_f64 v[53:54], v[57:58], v[53:54]
	v_fma_f64 v[192:193], v[12:13], s[2:3], v[190:191]
	v_fma_f64 v[57:58], v[12:13], s[2:3], -v[190:191]
	v_mul_f64 v[190:191], v[36:37], s[46:47]
	s_delay_alu instid0(VALU_DEP_3) | instskip(SKIP_1) | instid1(VALU_DEP_4)
	v_add_f64 v[42:43], v[192:193], v[42:43]
	v_mul_f64 v[192:193], v[132:133], s[42:43]
	v_add_f64 v[55:56], v[57:58], v[55:56]
	s_delay_alu instid0(VALU_DEP_2) | instskip(SKIP_2) | instid1(VALU_DEP_3)
	v_fma_f64 v[194:195], v[6:7], s[18:19], -v[192:193]
	v_fma_f64 v[57:58], v[6:7], s[18:19], v[192:193]
	v_mul_f64 v[192:193], v[134:135], s[46:47]
	v_add_f64 v[40:41], v[194:195], v[40:41]
	v_mul_f64 v[194:195], v[120:121], s[42:43]
	s_delay_alu instid0(VALU_DEP_4) | instskip(SKIP_2) | instid1(VALU_DEP_4)
	v_add_f64 v[170:171], v[57:58], v[53:54]
	v_mul_f64 v[53:54], v[152:153], s[42:43]
	v_mul_f64 v[57:58], v[150:151], s[42:43]
	v_fma_f64 v[172:173], v[8:9], s[18:19], -v[194:195]
	v_fma_f64 v[196:197], v[8:9], s[18:19], v[194:195]
	v_mul_f64 v[194:195], v[132:133], s[24:25]
	v_mul_f64 v[132:133], v[132:133], s[40:41]
	s_delay_alu instid0(VALU_DEP_4) | instskip(SKIP_3) | instid1(VALU_DEP_3)
	v_add_f64 v[172:173], v[172:173], v[55:56]
	v_fma_f64 v[55:56], v[30:31], s[18:19], -v[53:54]
	v_fma_f64 v[53:54], v[30:31], s[18:19], v[53:54]
	v_add_f64 v[42:43], v[196:197], v[42:43]
	v_add_f64 v[55:56], v[55:56], v[168:169]
	v_fma_f64 v[168:169], v[80:81], s[18:19], v[57:58]
	v_fma_f64 v[57:58], v[80:81], s[18:19], -v[57:58]
	v_add_f64 v[53:54], v[53:54], v[164:165]
	s_delay_alu instid0(VALU_DEP_3) | instskip(SKIP_1) | instid1(VALU_DEP_4)
	v_add_f64 v[166:167], v[168:169], v[166:167]
	v_fma_f64 v[168:169], v[26:27], s[16:17], -v[174:175]
	v_add_f64 v[57:58], v[57:58], v[162:163]
	v_fma_f64 v[162:163], v[26:27], s[16:17], v[174:175]
	s_delay_alu instid0(VALU_DEP_3) | instskip(SKIP_1) | instid1(VALU_DEP_3)
	v_add_f64 v[55:56], v[168:169], v[55:56]
	v_fma_f64 v[168:169], v[28:29], s[16:17], v[176:177]
	v_add_f64 v[53:54], v[162:163], v[53:54]
	v_fma_f64 v[162:163], v[28:29], s[16:17], -v[176:177]
	s_delay_alu instid0(VALU_DEP_3) | instskip(SKIP_1) | instid1(VALU_DEP_3)
	v_add_f64 v[166:167], v[168:169], v[166:167]
	v_fma_f64 v[168:169], v[22:23], s[12:13], -v[178:179]
	v_add_f64 v[57:58], v[162:163], v[57:58]
	v_fma_f64 v[162:163], v[22:23], s[12:13], v[178:179]
	s_delay_alu instid0(VALU_DEP_3) | instskip(SKIP_1) | instid1(VALU_DEP_3)
	v_add_f64 v[55:56], v[168:169], v[55:56]
	v_fma_f64 v[168:169], v[24:25], s[12:13], v[180:181]
	v_add_f64 v[53:54], v[162:163], v[53:54]
	v_fma_f64 v[162:163], v[24:25], s[12:13], -v[180:181]
	s_delay_alu instid0(VALU_DEP_3) | instskip(SKIP_1) | instid1(VALU_DEP_3)
	;; [unrolled: 10-line block ×5, first 2 shown]
	v_add_f64 v[168:169], v[168:169], v[166:167]
	v_fma_f64 v[166:167], v[6:7], s[14:15], -v[194:195]
	v_add_f64 v[57:58], v[162:163], v[57:58]
	v_fma_f64 v[162:163], v[6:7], s[14:15], v[194:195]
	s_delay_alu instid0(VALU_DEP_3) | instskip(SKIP_1) | instid1(VALU_DEP_3)
	v_add_f64 v[166:167], v[166:167], v[55:56]
	v_mul_f64 v[55:56], v[120:121], s[24:25]
	v_add_f64 v[162:163], v[162:163], v[53:54]
	v_mul_f64 v[53:54], v[152:153], s[44:45]
	v_fma_f64 v[152:153], v[26:27], s[8:9], -v[148:149]
	v_mul_f64 v[120:121], v[120:121], s[40:41]
	v_fma_f64 v[196:197], v[8:9], s[14:15], v[55:56]
	v_fma_f64 v[55:56], v[8:9], s[14:15], -v[55:56]
	s_delay_alu instid0(VALU_DEP_2) | instskip(NEXT) | instid1(VALU_DEP_2)
	v_add_f64 v[168:169], v[196:197], v[168:169]
	v_add_f64 v[164:165], v[55:56], v[57:58]
	v_fma_f64 v[55:56], v[30:31], s[22:23], -v[53:54]
	v_mul_f64 v[57:58], v[150:151], s[44:45]
	v_fma_f64 v[53:54], v[30:31], s[22:23], v[53:54]
	v_fma_f64 v[30:31], v[30:31], s[20:21], v[82:83]
	s_delay_alu instid0(VALU_DEP_4) | instskip(NEXT) | instid1(VALU_DEP_4)
	v_add_f64 v[55:56], v[55:56], v[160:161]
	v_fma_f64 v[150:151], v[80:81], s[22:23], v[57:58]
	s_delay_alu instid0(VALU_DEP_4)
	v_add_f64 v[53:54], v[53:54], v[156:157]
	v_fma_f64 v[57:58], v[80:81], s[22:23], -v[57:58]
	v_add_f64 v[30:31], v[30:31], v[32:33]
	v_add_f64 v[55:56], v[152:153], v[55:56]
	;; [unrolled: 1-line block ×3, first 2 shown]
	v_fma_f64 v[152:153], v[28:29], s[8:9], v[146:147]
	v_add_f64 v[57:58], v[57:58], v[154:155]
	s_delay_alu instid0(VALU_DEP_2) | instskip(SKIP_1) | instid1(VALU_DEP_1)
	v_add_f64 v[150:151], v[152:153], v[150:151]
	v_fma_f64 v[152:153], v[22:23], s[20:21], -v[144:145]
	v_add_f64 v[55:56], v[152:153], v[55:56]
	v_fma_f64 v[152:153], v[24:25], s[20:21], v[142:143]
	s_delay_alu instid0(VALU_DEP_1) | instskip(SKIP_1) | instid1(VALU_DEP_1)
	v_add_f64 v[150:151], v[152:153], v[150:151]
	v_fma_f64 v[152:153], v[18:19], s[12:13], -v[140:141]
	v_add_f64 v[55:56], v[152:153], v[55:56]
	v_fma_f64 v[152:153], v[20:21], s[12:13], v[138:139]
	s_delay_alu instid0(VALU_DEP_1) | instskip(SKIP_1) | instid1(VALU_DEP_1)
	v_add_f64 v[150:151], v[152:153], v[150:151]
	v_fma_f64 v[152:153], v[14:15], s[18:19], -v[136:137]
	v_add_f64 v[55:56], v[152:153], v[55:56]
	v_mul_f64 v[152:153], v[38:39], s[42:43]
	s_delay_alu instid0(VALU_DEP_1) | instskip(NEXT) | instid1(VALU_DEP_1)
	v_fma_f64 v[38:39], v[16:17], s[18:19], v[152:153]
	v_add_f64 v[38:39], v[38:39], v[150:151]
	v_mul_f64 v[150:151], v[36:37], s[24:25]
	s_delay_alu instid0(VALU_DEP_1) | instskip(NEXT) | instid1(VALU_DEP_1)
	v_fma_f64 v[36:37], v[10:11], s[14:15], -v[150:151]
	v_add_f64 v[36:37], v[36:37], v[55:56]
	v_mul_f64 v[55:56], v[134:135], s[24:25]
	s_delay_alu instid0(VALU_DEP_1) | instskip(SKIP_2) | instid1(VALU_DEP_3)
	v_fma_f64 v[134:135], v[12:13], s[14:15], v[55:56]
	v_fma_f64 v[55:56], v[12:13], s[14:15], -v[55:56]
	v_fma_f64 v[12:13], v[12:13], s[8:9], -v[130:131]
	v_add_f64 v[38:39], v[134:135], v[38:39]
	v_fma_f64 v[134:135], v[6:7], s[16:17], -v[132:133]
	s_delay_alu instid0(VALU_DEP_1) | instskip(SKIP_3) | instid1(VALU_DEP_3)
	v_add_f64 v[36:37], v[134:135], v[36:37]
	v_fma_f64 v[134:135], v[8:9], s[16:17], v[120:121]
	v_fma_f64 v[120:121], v[8:9], s[16:17], -v[120:121]
	v_fma_f64 v[8:9], v[8:9], s[2:3], -v[46:47]
	v_add_f64 v[38:39], v[134:135], v[38:39]
	v_fma_f64 v[134:135], v[26:27], s[8:9], v[148:149]
	v_fma_f64 v[26:27], v[26:27], s[18:19], v[110:111]
	s_delay_alu instid0(VALU_DEP_2) | instskip(SKIP_2) | instid1(VALU_DEP_4)
	v_add_f64 v[53:54], v[134:135], v[53:54]
	v_fma_f64 v[134:135], v[28:29], s[8:9], -v[146:147]
	v_fma_f64 v[28:29], v[28:29], s[18:19], -v[112:113]
	v_add_f64 v[26:27], v[26:27], v[30:31]
                                        ; implicit-def: $vgpr112_vgpr113
	s_delay_alu instid0(VALU_DEP_3) | instskip(SKIP_2) | instid1(VALU_DEP_2)
	v_add_f64 v[57:58], v[134:135], v[57:58]
	v_fma_f64 v[134:135], v[22:23], s[20:21], v[144:145]
	v_fma_f64 v[22:23], v[22:23], s[16:17], v[114:115]
	v_add_f64 v[53:54], v[134:135], v[53:54]
	v_fma_f64 v[134:135], v[24:25], s[20:21], -v[142:143]
	v_fma_f64 v[24:25], v[24:25], s[16:17], -v[116:117]
	s_delay_alu instid0(VALU_DEP_4) | instskip(NEXT) | instid1(VALU_DEP_3)
	v_add_f64 v[22:23], v[22:23], v[26:27]
	v_add_f64 v[57:58], v[134:135], v[57:58]
	v_fma_f64 v[134:135], v[18:19], s[12:13], v[140:141]
	v_fma_f64 v[18:19], v[18:19], s[14:15], v[118:119]
	s_delay_alu instid0(VALU_DEP_2) | instskip(SKIP_2) | instid1(VALU_DEP_4)
	v_add_f64 v[53:54], v[134:135], v[53:54]
	v_fma_f64 v[134:135], v[20:21], s[12:13], -v[138:139]
	v_fma_f64 v[20:21], v[20:21], s[14:15], -v[122:123]
	v_add_f64 v[18:19], v[18:19], v[22:23]
	s_delay_alu instid0(VALU_DEP_3) | instskip(SKIP_2) | instid1(VALU_DEP_2)
	v_add_f64 v[57:58], v[134:135], v[57:58]
	v_fma_f64 v[134:135], v[14:15], s[18:19], v[136:137]
	v_fma_f64 v[14:15], v[14:15], s[12:13], v[124:125]
	v_add_f64 v[53:54], v[134:135], v[53:54]
	v_fma_f64 v[134:135], v[16:17], s[18:19], -v[152:153]
	v_fma_f64 v[16:17], v[16:17], s[12:13], -v[126:127]
	s_delay_alu instid0(VALU_DEP_4) | instskip(NEXT) | instid1(VALU_DEP_3)
	v_add_f64 v[14:15], v[14:15], v[18:19]
                                        ; implicit-def: $vgpr152_vgpr153
	v_add_f64 v[57:58], v[134:135], v[57:58]
	v_fma_f64 v[134:135], v[10:11], s[14:15], v[150:151]
	v_fma_f64 v[10:11], v[10:11], s[8:9], v[128:129]
	s_delay_alu instid0(VALU_DEP_3) | instskip(NEXT) | instid1(VALU_DEP_3)
	v_add_f64 v[55:56], v[55:56], v[57:58]
	v_add_f64 v[53:54], v[134:135], v[53:54]
	v_fma_f64 v[57:58], v[6:7], s[16:17], v[132:133]
	v_fma_f64 v[6:7], v[6:7], s[2:3], v[44:45]
	v_add_f64 v[10:11], v[10:11], v[14:15]
	s_load_b64 s[2:3], s[0:1], 0x38
	v_add_f64 v[134:135], v[120:121], v[55:56]
	s_delay_alu instid0(VALU_DEP_4) | instskip(SKIP_1) | instid1(VALU_DEP_4)
	v_add_f64 v[132:133], v[57:58], v[53:54]
	v_fma_f64 v[53:54], v[80:81], s[20:21], -v[108:109]
	v_add_f64 v[80:81], v[6:7], v[10:11]
	ds_store_b128 v49, v[68:71] offset:16
	ds_store_b128 v49, v[84:87] offset:32
	;; [unrolled: 1-line block ×13, first 2 shown]
	ds_store_b128 v49, v[72:75]
                                        ; implicit-def: $vgpr108_vgpr109
                                        ; implicit-def: $vgpr132_vgpr133
	v_add_f64 v[32:33], v[53:54], v[34:35]
	s_delay_alu instid0(VALU_DEP_1) | instskip(NEXT) | instid1(VALU_DEP_1)
	v_add_f64 v[28:29], v[28:29], v[32:33]
	v_add_f64 v[24:25], v[24:25], v[28:29]
	s_delay_alu instid0(VALU_DEP_1) | instskip(NEXT) | instid1(VALU_DEP_1)
	v_add_f64 v[20:21], v[20:21], v[24:25]
	;; [unrolled: 3-line block ×3, first 2 shown]
	v_add_f64 v[82:83], v[8:9], v[12:13]
	ds_store_b128 v49, v[92:95] offset:224
	ds_store_b128 v49, v[76:79] offset:240
	ds_store_b128 v49, v[80:83] offset:256
	s_waitcnt lgkmcnt(0)
	s_barrier
	buffer_gl0_inv
	ds_load_b128 v[100:103], v48
	ds_load_b128 v[148:151], v48 offset:4624
	ds_load_b128 v[144:147], v48 offset:9248
	;; [unrolled: 1-line block ×13, first 2 shown]
	s_and_saveexec_b32 s0, vcc_lo
	s_cbranch_execz .LBB0_3
; %bb.2:
	ds_load_b128 v[92:95], v48 offset:3808
	ds_load_b128 v[76:79], v48 offset:8432
	;; [unrolled: 1-line block ×7, first 2 shown]
.LBB0_3:
	s_or_b32 exec_lo, exec_lo, s0
	v_and_b32_e32 v0, 0xff, v60
	s_mov_b32 s22, 0xaaaaaaaa
	s_mov_b32 s23, 0xbff2aaaa
	;; [unrolled: 1-line block ×4, first 2 shown]
	v_mul_lo_u16 v0, 0xf1, v0
	s_mov_b32 s14, 0x37e14327
	s_mov_b32 s1, 0x3fac98ee
	;; [unrolled: 1-line block ×4, first 2 shown]
	v_lshrrev_b16 v52, 12, v0
	s_mov_b32 s26, 0xe976ee23
	s_mov_b32 s24, 0x5476071b
	;; [unrolled: 1-line block ×4, first 2 shown]
	v_mul_lo_u16 v0, v52, 17
	s_mov_b32 s25, 0x3fe77f67
	s_mov_b32 s17, 0xbfe77f67
	;; [unrolled: 1-line block ×4, first 2 shown]
	v_sub_nc_u16 v0, v60, v0
	s_mov_b32 s20, s18
	s_mov_b32 s16, s24
	;; [unrolled: 1-line block ×4, first 2 shown]
	v_and_b32_e32 v55, 0xff, v0
	s_delay_alu instid0(VALU_DEP_1) | instskip(NEXT) | instid1(VALU_DEP_1)
	v_mul_u32_u24_e32 v0, 6, v55
	v_lshlrev_b32_e32 v2, 4, v0
	s_clause 0x5
	global_load_b128 v[104:107], v2, s[10:11]
	global_load_b128 v[164:167], v2, s[10:11] offset:16
	global_load_b128 v[168:171], v2, s[10:11] offset:80
	;; [unrolled: 1-line block ×5, first 2 shown]
	s_waitcnt vmcnt(5) lgkmcnt(12)
	v_mul_f64 v[0:1], v[150:151], v[106:107]
	s_delay_alu instid0(VALU_DEP_1) | instskip(SKIP_1) | instid1(VALU_DEP_1)
	v_fma_f64 v[38:39], v[148:149], v[104:105], -v[0:1]
	v_mul_f64 v[0:1], v[148:149], v[106:107]
	v_fma_f64 v[40:41], v[150:151], v[104:105], v[0:1]
	s_waitcnt vmcnt(4) lgkmcnt(11)
	v_mul_f64 v[0:1], v[146:147], v[166:167]
	s_delay_alu instid0(VALU_DEP_1) | instskip(SKIP_1) | instid1(VALU_DEP_1)
	v_fma_f64 v[42:43], v[144:145], v[164:165], -v[0:1]
	v_mul_f64 v[0:1], v[144:145], v[166:167]
	v_fma_f64 v[44:45], v[146:147], v[164:165], v[0:1]
	s_waitcnt vmcnt(3) lgkmcnt(7)
	v_mul_f64 v[0:1], v[142:143], v[170:171]
	s_delay_alu instid0(VALU_DEP_1) | instskip(SKIP_1) | instid1(VALU_DEP_1)
	v_fma_f64 v[46:47], v[140:141], v[168:169], -v[0:1]
	v_mul_f64 v[0:1], v[140:141], v[170:171]
	v_fma_f64 v[140:141], v[142:143], v[168:169], v[0:1]
	s_waitcnt vmcnt(2)
	v_mul_f64 v[0:1], v[138:139], v[174:175]
	s_delay_alu instid0(VALU_DEP_1) | instskip(SKIP_1) | instid1(VALU_DEP_1)
	v_fma_f64 v[142:143], v[136:137], v[172:173], -v[0:1]
	v_mul_f64 v[0:1], v[136:137], v[174:175]
	v_fma_f64 v[136:137], v[138:139], v[172:173], v[0:1]
	s_waitcnt vmcnt(1)
	v_mul_f64 v[0:1], v[130:131], v[158:159]
	s_delay_alu instid0(VALU_DEP_2) | instskip(NEXT) | instid1(VALU_DEP_2)
	v_add_f64 v[144:145], v[44:45], v[136:137]
	v_fma_f64 v[138:139], v[128:129], v[156:157], -v[0:1]
	v_mul_f64 v[0:1], v[128:129], v[158:159]
	v_add_f64 v[44:45], v[44:45], -v[136:137]
	s_delay_alu instid0(VALU_DEP_2) | instskip(SKIP_2) | instid1(VALU_DEP_1)
	v_fma_f64 v[128:129], v[130:131], v[156:157], v[0:1]
	s_waitcnt vmcnt(0)
	v_mul_f64 v[0:1], v[126:127], v[162:163]
	v_fma_f64 v[130:131], v[124:125], v[160:161], -v[0:1]
	v_mul_f64 v[0:1], v[124:125], v[162:163]
	s_delay_alu instid0(VALU_DEP_1) | instskip(SKIP_1) | instid1(VALU_DEP_1)
	v_fma_f64 v[124:125], v[126:127], v[160:161], v[0:1]
	v_add_nc_u16 v0, v60, 0x77
	v_and_b32_e32 v1, 0xff, v0
	s_delay_alu instid0(VALU_DEP_1) | instskip(NEXT) | instid1(VALU_DEP_1)
	v_mul_lo_u16 v1, 0xf1, v1
	v_lshrrev_b16 v53, 12, v1
	s_delay_alu instid0(VALU_DEP_1) | instskip(NEXT) | instid1(VALU_DEP_1)
	v_mul_lo_u16 v1, v53, 17
	v_sub_nc_u16 v0, v0, v1
	s_delay_alu instid0(VALU_DEP_1) | instskip(NEXT) | instid1(VALU_DEP_1)
	v_and_b32_e32 v54, 0xff, v0
	v_mul_u32_u24_e32 v0, 6, v54
	v_add_f64 v[146:147], v[128:129], v[124:125]
	s_delay_alu instid0(VALU_DEP_2)
	v_lshlrev_b32_e32 v2, 4, v0
	s_clause 0x5
	global_load_b128 v[176:179], v2, s[10:11]
	global_load_b128 v[180:183], v2, s[10:11] offset:16
	global_load_b128 v[184:187], v2, s[10:11] offset:80
	;; [unrolled: 1-line block ×5, first 2 shown]
	s_waitcnt vmcnt(5) lgkmcnt(5)
	v_mul_f64 v[0:1], v[122:123], v[178:179]
	s_delay_alu instid0(VALU_DEP_1) | instskip(SKIP_1) | instid1(VALU_DEP_1)
	v_fma_f64 v[22:23], v[120:121], v[176:177], -v[0:1]
	v_mul_f64 v[0:1], v[120:121], v[178:179]
	v_fma_f64 v[24:25], v[122:123], v[176:177], v[0:1]
	s_waitcnt vmcnt(4) lgkmcnt(4)
	v_mul_f64 v[0:1], v[118:119], v[182:183]
	s_delay_alu instid0(VALU_DEP_1) | instskip(SKIP_1) | instid1(VALU_DEP_1)
	v_fma_f64 v[26:27], v[116:117], v[180:181], -v[0:1]
	v_mul_f64 v[0:1], v[116:117], v[182:183]
	v_fma_f64 v[28:29], v[118:119], v[180:181], v[0:1]
	s_waitcnt vmcnt(3) lgkmcnt(0)
	v_mul_f64 v[0:1], v[74:75], v[186:187]
	s_delay_alu instid0(VALU_DEP_1) | instskip(SKIP_1) | instid1(VALU_DEP_2)
	v_fma_f64 v[30:31], v[72:73], v[184:185], -v[0:1]
	v_mul_f64 v[0:1], v[72:73], v[186:187]
	v_add_f64 v[150:151], v[22:23], v[30:31]
	s_delay_alu instid0(VALU_DEP_2) | instskip(SKIP_3) | instid1(VALU_DEP_3)
	v_fma_f64 v[32:33], v[74:75], v[184:185], v[0:1]
	s_waitcnt vmcnt(2)
	v_mul_f64 v[0:1], v[70:71], v[190:191]
	v_add_f64 v[30:31], v[22:23], -v[30:31]
	v_add_f64 v[198:199], v[24:25], v[32:33]
	s_delay_alu instid0(VALU_DEP_3) | instskip(SKIP_2) | instid1(VALU_DEP_2)
	v_fma_f64 v[34:35], v[68:69], v[188:189], -v[0:1]
	v_mul_f64 v[0:1], v[68:69], v[190:191]
	v_add_f64 v[32:33], v[24:25], -v[32:33]
	v_fma_f64 v[36:37], v[70:71], v[188:189], v[0:1]
	v_add_nc_u16 v0, v60, 0xee
	s_delay_alu instid0(VALU_DEP_1) | instskip(NEXT) | instid1(VALU_DEP_1)
	v_and_b32_e32 v1, 0xffff, v0
	v_mul_u32_u24_e32 v1, 0xf0f1, v1
	s_delay_alu instid0(VALU_DEP_1) | instskip(SKIP_2) | instid1(VALU_DEP_1)
	v_lshrrev_b32_e32 v1, 20, v1
	scratch_store_b32 off, v1, off offset:348 ; 4-byte Folded Spill
	v_mul_lo_u16 v1, v1, 17
	v_sub_nc_u16 v0, v0, v1
	scratch_store_b32 off, v0, off offset:352 ; 4-byte Folded Spill
	v_mul_lo_u16 v0, v0, 6
	s_delay_alu instid0(VALU_DEP_1) | instskip(SKIP_2) | instid1(VALU_DEP_3)
	v_and_b32_e32 v0, 0xffff, v0
	v_add_f64 v[204:205], v[28:29], v[36:37]
	v_add_f64 v[28:29], v[28:29], -v[36:37]
	v_lshlrev_b32_e32 v3, 4, v0
	s_clause 0x3
	global_load_b128 v[4:7], v3, s[10:11]
	global_load_b128 v[14:17], v3, s[10:11] offset:16
	global_load_b128 v[18:21], v3, s[10:11] offset:80
	;; [unrolled: 1-line block ×3, first 2 shown]
	s_waitcnt vmcnt(3)
	v_mul_f64 v[0:1], v[78:79], v[6:7]
	scratch_store_b128 off, v[4:7], off offset:380 ; 16-byte Folded Spill
	s_waitcnt vmcnt(2)
	scratch_store_b128 off, v[14:17], off offset:396 ; 16-byte Folded Spill
	s_waitcnt vmcnt(1)
	;; [unrolled: 2-line block ×3, first 2 shown]
	scratch_store_b128 off, v[56:59], off offset:428 ; 16-byte Folded Spill
	v_fma_f64 v[8:9], v[76:77], v[4:5], -v[0:1]
	v_mul_f64 v[0:1], v[76:77], v[6:7]
	s_delay_alu instid0(VALU_DEP_1) | instskip(SKIP_2) | instid1(VALU_DEP_1)
	v_fma_f64 v[6:7], v[78:79], v[4:5], v[0:1]
	v_mul_f64 v[0:1], v[82:83], v[16:17]
	v_and_b32_e32 v4, 0xffff, v52
	v_mul_u32_u24_e32 v4, 0x77, v4
	s_delay_alu instid0(VALU_DEP_1) | instskip(SKIP_1) | instid1(VALU_DEP_1)
	v_add_lshl_u32 v52, v4, v55, 4
	v_and_b32_e32 v4, 0xffff, v53
	v_mul_u32_u24_e32 v4, 0x77, v4
	s_delay_alu instid0(VALU_DEP_1) | instskip(SKIP_2) | instid1(VALU_DEP_1)
	v_add_lshl_u32 v53, v4, v54, 4
	v_fma_f64 v[12:13], v[80:81], v[14:15], -v[0:1]
	v_mul_f64 v[0:1], v[80:81], v[16:17]
	v_fma_f64 v[10:11], v[82:83], v[14:15], v[0:1]
	v_mul_f64 v[0:1], v[154:155], v[20:21]
	s_delay_alu instid0(VALU_DEP_1) | instskip(SKIP_3) | instid1(VALU_DEP_4)
	v_fma_f64 v[16:17], v[152:153], v[18:19], -v[0:1]
	v_mul_f64 v[0:1], v[152:153], v[20:21]
	v_add_f64 v[152:153], v[26:27], v[34:35]
	v_add_f64 v[26:27], v[26:27], -v[34:35]
	v_add_f64 v[212:213], v[8:9], v[16:17]
	s_delay_alu instid0(VALU_DEP_4) | instskip(SKIP_2) | instid1(VALU_DEP_3)
	v_fma_f64 v[14:15], v[154:155], v[18:19], v[0:1]
	v_mul_f64 v[0:1], v[134:135], v[58:59]
	v_add_f64 v[8:9], v[8:9], -v[16:17]
	v_add_f64 v[218:219], v[6:7], v[14:15]
	s_delay_alu instid0(VALU_DEP_3)
	v_fma_f64 v[20:21], v[132:133], v[56:57], -v[0:1]
	v_mul_f64 v[0:1], v[132:133], v[58:59]
	v_add_f64 v[58:59], v[42:43], v[142:143]
	v_add_f64 v[42:43], v[42:43], -v[142:143]
	v_add_f64 v[6:7], v[6:7], -v[14:15]
	v_add_f64 v[210:211], v[12:13], v[20:21]
	v_fma_f64 v[18:19], v[134:135], v[56:57], v[0:1]
	v_mul_f64 v[0:1], v[90:91], v[194:195]
	v_add_f64 v[56:57], v[38:39], v[46:47]
	v_add_f64 v[134:135], v[40:41], v[140:141]
	v_add_f64 v[46:47], v[38:39], -v[46:47]
	v_add_f64 v[12:13], v[12:13], -v[20:21]
	;; [unrolled: 1-line block ×3, first 2 shown]
	v_add_f64 v[220:221], v[10:11], v[18:19]
	v_fma_f64 v[120:121], v[88:89], v[192:193], -v[0:1]
	v_mul_f64 v[0:1], v[88:89], v[194:195]
	v_add_f64 v[10:11], v[10:11], -v[18:19]
	s_delay_alu instid0(VALU_DEP_2) | instskip(SKIP_4) | instid1(VALU_DEP_2)
	v_fma_f64 v[118:119], v[90:91], v[192:193], v[0:1]
	v_mul_f64 v[0:1], v[86:87], v[202:203]
	global_load_b128 v[88:91], v3, s[10:11] offset:48
	v_fma_f64 v[126:127], v[84:85], v[200:201], -v[0:1]
	v_mul_f64 v[0:1], v[84:85], v[202:203]
	v_add_f64 v[154:155], v[120:121], v[126:127]
	s_delay_alu instid0(VALU_DEP_2)
	v_fma_f64 v[122:123], v[86:87], v[200:201], v[0:1]
	global_load_b128 v[84:87], v3, s[10:11] offset:32
	s_waitcnt vmcnt(0)
	s_waitcnt_vscnt null, 0x0
	s_barrier
	buffer_gl0_inv
	v_add_f64 v[34:35], v[126:127], -v[120:121]
	v_add_f64 v[206:207], v[118:119], v[122:123]
	v_add_f64 v[36:37], v[122:123], -v[118:119]
	v_add_f64 v[118:119], v[26:27], -v[30:31]
	;; [unrolled: 1-line block ×4, first 2 shown]
	v_add_f64 v[22:23], v[34:35], v[26:27]
	v_add_f64 v[26:27], v[36:37], -v[28:29]
	v_add_f64 v[120:121], v[36:37], v[28:29]
	s_delay_alu instid0(VALU_DEP_2) | instskip(NEXT) | instid1(VALU_DEP_2)
	v_mul_f64 v[126:127], v[26:27], s[26:27]
	v_add_f64 v[120:121], v[120:121], v[32:33]
	v_mul_f64 v[0:1], v[114:115], v[86:87]
	s_delay_alu instid0(VALU_DEP_1) | instskip(SKIP_1) | instid1(VALU_DEP_1)
	v_fma_f64 v[116:117], v[112:113], v[84:85], -v[0:1]
	v_mul_f64 v[0:1], v[112:113], v[86:87]
	v_fma_f64 v[112:113], v[114:115], v[84:85], v[0:1]
	v_mul_f64 v[0:1], v[110:111], v[90:91]
	s_delay_alu instid0(VALU_DEP_1) | instskip(SKIP_1) | instid1(VALU_DEP_2)
	v_fma_f64 v[114:115], v[108:109], v[88:89], -v[0:1]
	v_mul_f64 v[0:1], v[108:109], v[90:91]
	v_add_f64 v[214:215], v[116:117], v[114:115]
	s_delay_alu instid0(VALU_DEP_2)
	v_fma_f64 v[108:109], v[110:111], v[88:89], v[0:1]
	v_add_f64 v[110:111], v[138:139], v[130:131]
	v_add_f64 v[0:1], v[58:59], v[56:57]
	v_add_f64 v[20:21], v[114:115], -v[116:117]
	v_add_f64 v[18:19], v[214:215], -v[210:211]
	v_add_f64 v[222:223], v[112:113], v[108:109]
	v_add_f64 v[16:17], v[108:109], -v[112:113]
	v_add_f64 v[132:133], v[110:111], v[0:1]
	v_add_f64 v[0:1], v[144:145], v[134:135]
	v_add_f64 v[108:109], v[20:21], -v[12:13]
	v_mul_f64 v[114:115], v[18:19], s[0:1]
	v_add_f64 v[112:113], v[16:17], -v[10:11]
	v_add_f64 v[100:101], v[100:101], v[132:133]
	v_add_f64 v[148:149], v[146:147], v[0:1]
	;; [unrolled: 1-line block ×3, first 2 shown]
	v_mul_f64 v[108:109], v[108:109], s[26:27]
	v_fma_f64 v[114:115], v[14:15], s[24:25], -v[114:115]
	v_mul_f64 v[112:113], v[112:113], s[26:27]
	v_fma_f64 v[132:133], v[132:133], s[22:23], v[100:101]
	v_add_f64 v[102:103], v[102:103], v[148:149]
	v_add_f64 v[196:197], v[154:155], v[0:1]
	v_add_f64 v[0:1], v[204:205], v[198:199]
	s_delay_alu instid0(VALU_DEP_3)
	v_fma_f64 v[148:149], v[148:149], s[22:23], v[102:103]
	ds_store_b128 v52, v[100:103]
	v_add_f64 v[208:209], v[206:207], v[0:1]
	v_add_f64 v[0:1], v[210:211], v[212:213]
	v_add_f64 v[100:101], v[40:41], -v[140:141]
	v_add_f64 v[102:103], v[58:59], -v[56:57]
	;; [unrolled: 1-line block ×5, first 2 shown]
	v_add_f64 v[96:97], v[96:97], v[196:197]
	v_add_f64 v[98:99], v[98:99], v[208:209]
	;; [unrolled: 1-line block ×4, first 2 shown]
	v_mul_f64 v[55:56], v[55:56], s[14:15]
	v_mul_f64 v[110:111], v[110:111], s[14:15]
	s_delay_alu instid0(VALU_DEP_3)
	v_add_f64 v[224:225], v[222:223], v[0:1]
	v_add_f64 v[0:1], v[92:93], v[216:217]
	v_add_f64 v[92:93], v[130:131], -v[138:139]
	v_add_f64 v[130:131], v[42:43], -v[46:47]
	;; [unrolled: 1-line block ×3, first 2 shown]
	v_add_f64 v[2:3], v[94:95], v[224:225]
	v_add_f64 v[94:95], v[124:125], -v[128:129]
	v_add_f64 v[38:39], v[92:93], v[42:43]
	v_add_f64 v[124:125], v[144:145], -v[134:135]
	v_add_f64 v[128:129], v[146:147], -v[144:145]
	;; [unrolled: 1-line block ×4, first 2 shown]
	v_add_f64 v[136:137], v[94:95], v[44:45]
	v_add_f64 v[144:145], v[38:39], v[46:47]
	v_mul_f64 v[38:39], v[58:59], s[0:1]
	v_add_f64 v[46:47], v[46:47], -v[92:93]
	v_mul_f64 v[92:93], v[130:131], s[12:13]
	v_add_f64 v[42:43], v[94:95], -v[44:45]
	v_mul_f64 v[140:141], v[40:41], s[26:27]
	v_mul_f64 v[40:41], v[128:129], s[0:1]
	v_add_f64 v[134:135], v[100:101], -v[94:95]
	v_mul_f64 v[94:95], v[138:139], s[12:13]
	v_add_f64 v[136:137], v[136:137], v[100:101]
	v_fma_f64 v[100:101], v[102:103], s[16:17], -v[55:56]
	v_fma_f64 v[38:39], v[102:103], s[24:25], -v[38:39]
	;; [unrolled: 1-line block ×4, first 2 shown]
	v_mul_f64 v[142:143], v[42:43], s[26:27]
	v_fma_f64 v[42:43], v[130:131], s[12:13], -v[140:141]
	v_fma_f64 v[40:41], v[124:125], s[24:25], -v[40:41]
	v_fma_f64 v[55:56], v[58:59], s[0:1], v[55:56]
	v_fma_f64 v[94:95], v[134:135], s[20:21], -v[94:95]
	v_fma_f64 v[46:47], v[46:47], s[18:19], v[140:141]
	v_fma_f64 v[57:58], v[128:129], s[0:1], v[110:111]
	;; [unrolled: 1-line block ×3, first 2 shown]
	v_add_f64 v[100:101], v[100:101], v[132:133]
	v_add_f64 v[226:227], v[38:39], v[132:133]
	;; [unrolled: 1-line block ×3, first 2 shown]
	v_fma_f64 v[124:125], v[144:145], s[8:9], v[92:93]
	v_fma_f64 v[44:45], v[144:145], s[8:9], v[42:43]
	v_fma_f64 v[42:43], v[138:139], s[12:13], -v[142:143]
	v_add_f64 v[55:56], v[55:56], v[132:133]
	v_fma_f64 v[130:131], v[136:137], s[8:9], v[94:95]
	v_fma_f64 v[46:47], v[144:145], s[8:9], v[46:47]
	v_add_f64 v[57:58], v[57:58], v[148:149]
	v_fma_f64 v[138:139], v[196:197], s[22:23], v[96:97]
	v_add_f64 v[228:229], v[40:41], v[148:149]
	v_add_f64 v[148:149], v[32:33], -v[36:37]
	v_mul_f64 v[32:33], v[122:123], s[12:13]
	v_add_f64 v[94:95], v[102:103], -v[124:125]
	v_add_f64 v[102:103], v[124:125], v[102:103]
	v_fma_f64 v[124:125], v[134:135], s[18:19], v[142:143]
	v_fma_f64 v[42:43], v[136:137], s[8:9], v[42:43]
	v_add_f64 v[92:93], v[130:131], v[100:101]
	v_add_f64 v[100:101], v[100:101], -v[130:131]
	v_add_f64 v[130:131], v[57:58], -v[46:47]
	v_add_f64 v[134:135], v[46:47], v[57:58]
	v_add_f64 v[46:47], v[152:153], -v[150:151]
	v_add_f64 v[57:58], v[204:205], -v[198:199]
	v_fma_f64 v[32:33], v[148:149], s[20:21], -v[32:33]
	v_add_f64 v[40:41], v[44:45], v[228:229]
	v_add_f64 v[44:45], v[228:229], -v[44:45]
	v_fma_f64 v[110:111], v[136:137], s[8:9], v[124:125]
	v_mul_f64 v[124:125], v[24:25], s[26:27]
	v_add_f64 v[136:137], v[22:23], v[30:31]
	v_mul_f64 v[30:31], v[118:119], s[12:13]
	v_add_f64 v[38:39], v[226:227], -v[42:43]
	v_add_f64 v[42:43], v[42:43], v[226:227]
	v_add_f64 v[128:129], v[110:111], v[55:56]
	v_add_f64 v[132:133], v[55:56], -v[110:111]
	v_add_f64 v[55:56], v[154:155], -v[152:153]
	;; [unrolled: 1-line block ×3, first 2 shown]
	v_fma_f64 v[26:27], v[118:119], s[12:13], -v[124:125]
	v_fma_f64 v[30:31], v[146:147], s[20:21], -v[30:31]
	s_delay_alu instid0(VALU_DEP_4) | instskip(NEXT) | instid1(VALU_DEP_4)
	v_mul_f64 v[22:23], v[55:56], s[0:1]
	v_mul_f64 v[24:25], v[110:111], s[0:1]
	s_delay_alu instid0(VALU_DEP_4) | instskip(SKIP_1) | instid1(VALU_DEP_4)
	v_fma_f64 v[28:29], v[136:137], s[8:9], v[26:27]
	v_fma_f64 v[26:27], v[122:123], s[12:13], -v[126:127]
	v_fma_f64 v[22:23], v[46:47], s[24:25], -v[22:23]
	s_delay_alu instid0(VALU_DEP_4) | instskip(NEXT) | instid1(VALU_DEP_3)
	v_fma_f64 v[24:25], v[57:58], s[24:25], -v[24:25]
	v_fma_f64 v[26:27], v[120:121], s[8:9], v[26:27]
	s_delay_alu instid0(VALU_DEP_3) | instskip(NEXT) | instid1(VALU_DEP_3)
	v_add_f64 v[142:143], v[22:23], v[138:139]
	v_add_f64 v[144:145], v[24:25], v[140:141]
	s_delay_alu instid0(VALU_DEP_2) | instskip(SKIP_2) | instid1(VALU_DEP_4)
	v_add_f64 v[22:23], v[142:143], -v[26:27]
	v_add_f64 v[26:27], v[26:27], v[142:143]
	v_add_f64 v[142:143], v[150:151], -v[154:155]
	v_add_f64 v[24:25], v[28:29], v[144:145]
	v_add_f64 v[28:29], v[144:145], -v[28:29]
	v_add_f64 v[144:145], v[198:199], -v[206:207]
	s_delay_alu instid0(VALU_DEP_4) | instskip(NEXT) | instid1(VALU_DEP_2)
	v_mul_f64 v[118:119], v[142:143], s[14:15]
	v_mul_f64 v[122:123], v[144:145], s[14:15]
	s_delay_alu instid0(VALU_DEP_2) | instskip(SKIP_2) | instid1(VALU_DEP_4)
	v_fma_f64 v[34:35], v[46:47], s[16:17], -v[118:119]
	v_fma_f64 v[46:47], v[136:137], s[8:9], v[30:31]
	v_fma_f64 v[55:56], v[55:56], s[0:1], v[118:119]
	v_fma_f64 v[36:37], v[57:58], s[16:17], -v[122:123]
	v_fma_f64 v[57:58], v[120:121], s[8:9], v[32:33]
	v_fma_f64 v[110:111], v[110:111], s[0:1], v[122:123]
	v_add_f64 v[34:35], v[34:35], v[138:139]
	v_add_f64 v[55:56], v[55:56], v[138:139]
	;; [unrolled: 1-line block ×3, first 2 shown]
	s_delay_alu instid0(VALU_DEP_4) | instskip(NEXT) | instid1(VALU_DEP_4)
	v_add_f64 v[110:111], v[110:111], v[140:141]
	v_add_f64 v[30:31], v[57:58], v[34:35]
	v_add_f64 v[34:35], v[34:35], -v[57:58]
	v_fma_f64 v[57:58], v[148:149], s[18:19], v[126:127]
	v_add_f64 v[32:33], v[36:37], -v[46:47]
	v_add_f64 v[36:37], v[46:47], v[36:37]
	v_fma_f64 v[46:47], v[146:147], s[18:19], v[124:125]
	v_fma_f64 v[126:127], v[216:217], s[22:23], v[0:1]
	;; [unrolled: 1-line block ×3, first 2 shown]
	s_delay_alu instid0(VALU_DEP_3) | instskip(SKIP_1) | instid1(VALU_DEP_4)
	v_fma_f64 v[46:47], v[136:137], s[8:9], v[46:47]
	v_fma_f64 v[136:137], v[224:225], s[22:23], v[2:3]
	v_add_f64 v[114:115], v[114:115], v[126:127]
	s_delay_alu instid0(VALU_DEP_4)
	v_add_f64 v[118:119], v[57:58], v[55:56]
	v_add_f64 v[122:123], v[55:56], -v[57:58]
	v_add_f64 v[55:56], v[222:223], -v[220:221]
	;; [unrolled: 1-line block ×3, first 2 shown]
	v_add_f64 v[124:125], v[46:47], v[110:111]
	v_add_f64 v[46:47], v[220:221], -v[218:219]
	v_add_f64 v[57:58], v[20:21], v[12:13]
	v_add_f64 v[12:13], v[12:13], -v[8:9]
	;; [unrolled: 2-line block ×3, first 2 shown]
	v_mul_f64 v[116:117], v[55:56], s[0:1]
	v_add_f64 v[57:58], v[57:58], v[8:9]
	v_fma_f64 v[138:139], v[12:13], s[12:13], -v[108:109]
	v_add_f64 v[110:111], v[110:111], v[6:7]
	v_fma_f64 v[140:141], v[10:11], s[12:13], -v[112:113]
	v_add_f64 v[6:7], v[6:7], -v[16:17]
	v_mul_f64 v[10:11], v[10:11], s[12:13]
	v_add_f64 v[8:9], v[8:9], -v[20:21]
	v_mul_f64 v[12:13], v[12:13], s[12:13]
	v_fma_f64 v[116:117], v[46:47], s[24:25], -v[116:117]
	v_fma_f64 v[138:139], v[57:58], s[8:9], v[138:139]
	v_fma_f64 v[140:141], v[110:111], s[8:9], v[140:141]
	;; [unrolled: 1-line block ×3, first 2 shown]
	v_fma_f64 v[10:11], v[6:7], s[20:21], -v[10:11]
	v_fma_f64 v[16:17], v[8:9], s[18:19], v[108:109]
	v_fma_f64 v[8:9], v[8:9], s[20:21], -v[12:13]
	v_add_f64 v[116:117], v[116:117], v[136:137]
	v_add_f64 v[61:62], v[114:115], -v[140:141]
	s_delay_alu instid0(VALU_DEP_4) | instskip(NEXT) | instid1(VALU_DEP_3)
	v_fma_f64 v[12:13], v[57:58], s[8:9], v[16:17]
	v_add_f64 v[63:64], v[138:139], v[116:117]
	scratch_store_b128 off, v[61:64], off   ; 16-byte Folded Spill
	v_add_f64 v[61:62], v[140:141], v[114:115]
	v_add_f64 v[63:64], v[116:117], -v[138:139]
	scratch_store_b128 off, v[61:64], off offset:16 ; 16-byte Folded Spill
	ds_store_b128 v52, v[128:131] offset:272
	ds_store_b128 v52, v[92:95] offset:544
	;; [unrolled: 1-line block ×6, first 2 shown]
	ds_store_b128 v53, v[96:99]
	ds_store_b128 v53, v[118:121] offset:272
	ds_store_b128 v53, v[30:33] offset:544
	;; [unrolled: 1-line block ×6, first 2 shown]
	v_add_f64 v[22:23], v[212:213], -v[214:215]
	v_add_f64 v[24:25], v[218:219], -v[222:223]
	s_delay_alu instid0(VALU_DEP_2) | instskip(NEXT) | instid1(VALU_DEP_1)
	v_mul_f64 v[6:7], v[22:23], s[14:15]
	v_fma_f64 v[14:15], v[14:15], s[16:17], -v[6:7]
	v_fma_f64 v[22:23], v[18:19], s[0:1], v[6:7]
	s_delay_alu instid0(VALU_DEP_4)
	v_mul_f64 v[6:7], v[24:25], s[14:15]
	v_fma_f64 v[18:19], v[57:58], s[8:9], v[8:9]
	v_fma_f64 v[8:9], v[110:111], s[8:9], v[10:11]
	v_add_f64 v[10:11], v[14:15], v[126:127]
	v_add_f64 v[14:15], v[22:23], v[126:127]
	v_fma_f64 v[24:25], v[46:47], s[16:17], -v[6:7]
	v_fma_f64 v[26:27], v[55:56], s[0:1], v[6:7]
	v_fma_f64 v[6:7], v[110:111], s[8:9], v[20:21]
	v_add_f64 v[22:23], v[10:11], -v[8:9]
	s_delay_alu instid0(VALU_DEP_4) | instskip(NEXT) | instid1(VALU_DEP_4)
	v_add_f64 v[20:21], v[24:25], v[136:137]
	v_add_f64 v[16:17], v[26:27], v[136:137]
	s_delay_alu instid0(VALU_DEP_2)
	v_add_f64 v[24:25], v[18:19], v[20:21]
	scratch_store_b128 off, v[22:25], off offset:32 ; 16-byte Folded Spill
	v_add_f64 v[22:23], v[14:15], -v[6:7]
	v_add_f64 v[24:25], v[12:13], v[16:17]
	scratch_store_b128 off, v[22:25], off offset:48 ; 16-byte Folded Spill
	s_and_saveexec_b32 s0, vcc_lo
	s_cbranch_execz .LBB0_5
; %bb.4:
	s_clause 0x1
	scratch_load_b32 v4, off, off offset:348
	scratch_load_b32 v5, off, off offset:352
	v_add_f64 v[18:19], v[20:21], -v[18:19]
	v_add_f64 v[22:23], v[16:17], -v[12:13]
	v_add_f64 v[20:21], v[6:7], v[14:15]
	v_add_f64 v[16:17], v[8:9], v[10:11]
	s_waitcnt vmcnt(0)
	v_mad_u16 v4, 0x77, v4, v5
	scratch_load_b128 v[5:8], off, off offset:16 ; 16-byte Folded Reload
	v_and_b32_e32 v4, 0xffff, v4
	s_delay_alu instid0(VALU_DEP_1)
	v_lshlrev_b32_e32 v4, 4, v4
	s_waitcnt vmcnt(0)
	ds_store_b128 v4, v[5:8] offset:1088
	scratch_load_b128 v[5:8], off, off offset:32 ; 16-byte Folded Reload
	s_waitcnt vmcnt(0)
	ds_store_b128 v4, v[5:8] offset:1360
	ds_store_b128 v4, v[0:3]
	ds_store_b128 v4, v[20:23] offset:272
	ds_store_b128 v4, v[16:19] offset:544
	scratch_load_b128 v[0:3], off, off      ; 16-byte Folded Reload
	s_waitcnt vmcnt(0)
	ds_store_b128 v4, v[0:3] offset:816
	scratch_load_b128 v[0:3], off, off offset:48 ; 16-byte Folded Reload
	s_waitcnt vmcnt(0)
	ds_store_b128 v4, v[0:3] offset:1632
.LBB0_5:
	s_or_b32 exec_lo, exec_lo, s0
	v_lshlrev_b32_e32 v4, 8, v60
	s_waitcnt lgkmcnt(0)
	s_waitcnt_vscnt null, 0x0
	s_barrier
	buffer_gl0_inv
	ds_load_b128 v[224:227], v48
	ds_load_b128 v[0:3], v48 offset:1904
	ds_load_b128 v[6:9], v48 offset:3808
	;; [unrolled: 1-line block ×16, first 2 shown]
	scratch_store_b32 off, v60, off offset:72 ; 4-byte Folded Spill
	s_clause 0xb
	global_load_b128 v[92:95], v4, s[10:11] offset:1680
	global_load_b128 v[96:99], v4, s[10:11] offset:1664
	;; [unrolled: 1-line block ×12, first 2 shown]
	s_mov_b32 s8, 0x3259b75e
	s_mov_b32 s12, 0x923c349f
	;; [unrolled: 1-line block ×43, first 2 shown]
	s_waitcnt vmcnt(3) lgkmcnt(4)
	v_mul_f64 v[28:29], v[198:199], v[122:123]
	v_mul_f64 v[22:23], v[2:3], v[146:147]
	s_delay_alu instid0(VALU_DEP_2) | instskip(NEXT) | instid1(VALU_DEP_2)
	v_fma_f64 v[228:229], v[196:197], v[120:121], -v[28:29]
	v_fma_f64 v[54:55], v[0:1], v[144:145], -v[22:23]
	v_mul_f64 v[0:1], v[0:1], v[146:147]
	v_mul_f64 v[28:29], v[196:197], v[122:123]
	s_delay_alu instid0(VALU_DEP_2) | instskip(SKIP_3) | instid1(VALU_DEP_4)
	v_fma_f64 v[56:57], v[2:3], v[144:145], v[0:1]
	v_mul_f64 v[0:1], v[8:9], v[102:103]
	s_waitcnt vmcnt(0)
	v_mul_f64 v[2:3], v[142:143], v[138:139]
	v_fma_f64 v[28:29], v[198:199], v[120:121], v[28:29]
	s_delay_alu instid0(VALU_DEP_3) | instskip(SKIP_1) | instid1(VALU_DEP_1)
	v_fma_f64 v[236:237], v[6:7], v[100:101], -v[0:1]
	v_mul_f64 v[0:1], v[6:7], v[102:103]
	v_fma_f64 v[238:239], v[8:9], v[100:101], v[0:1]
	v_mul_f64 v[0:1], v[12:13], v[98:99]
	v_fma_f64 v[8:9], v[140:141], v[136:137], -v[2:3]
	v_mul_f64 v[2:3], v[140:141], v[138:139]
	s_delay_alu instid0(VALU_DEP_3) | instskip(SKIP_1) | instid1(VALU_DEP_3)
	v_fma_f64 v[234:235], v[10:11], v[96:97], -v[0:1]
	v_mul_f64 v[0:1], v[10:11], v[98:99]
	v_fma_f64 v[2:3], v[142:143], v[136:137], v[2:3]
	s_delay_alu instid0(VALU_DEP_2) | instskip(SKIP_2) | instid1(VALU_DEP_2)
	v_fma_f64 v[34:35], v[12:13], v[96:97], v[0:1]
	v_mul_f64 v[0:1], v[16:17], v[94:95]
	v_mul_f64 v[12:13], v[150:151], v[134:135]
	v_fma_f64 v[232:233], v[14:15], v[92:93], -v[0:1]
	v_mul_f64 v[0:1], v[14:15], v[94:95]
	s_delay_alu instid0(VALU_DEP_1) | instskip(SKIP_3) | instid1(VALU_DEP_3)
	v_fma_f64 v[230:231], v[16:17], v[92:93], v[0:1]
	v_mul_f64 v[0:1], v[20:21], v[126:127]
	v_fma_f64 v[16:17], v[148:149], v[132:133], -v[12:13]
	v_mul_f64 v[12:13], v[148:149], v[134:135]
	v_fma_f64 v[30:31], v[18:19], v[124:125], -v[0:1]
	v_mul_f64 v[0:1], v[18:19], v[126:127]
	s_delay_alu instid0(VALU_DEP_3) | instskip(NEXT) | instid1(VALU_DEP_2)
	v_fma_f64 v[12:13], v[150:151], v[132:133], v[12:13]
	v_fma_f64 v[26:27], v[20:21], v[124:125], v[0:1]
	v_mul_f64 v[20:21], v[154:155], v[130:131]
	v_mul_f64 v[0:1], v[38:39], v[118:119]
	s_delay_alu instid0(VALU_DEP_2) | instskip(SKIP_1) | instid1(VALU_DEP_3)
	v_fma_f64 v[24:25], v[152:153], v[128:129], -v[20:21]
	v_mul_f64 v[20:21], v[152:153], v[130:131]
	v_fma_f64 v[22:23], v[36:37], v[116:117], -v[0:1]
	v_mul_f64 v[0:1], v[36:37], v[118:119]
	s_delay_alu instid0(VALU_DEP_3)
	v_fma_f64 v[20:21], v[154:155], v[128:129], v[20:21]
	s_clause 0x3
	global_load_b128 v[152:155], v4, s[10:11] offset:1872
	global_load_b128 v[148:151], v4, s[10:11] offset:1856
	;; [unrolled: 1-line block ×4, first 2 shown]
	v_fma_f64 v[18:19], v[38:39], v[116:117], v[0:1]
	v_mul_f64 v[0:1], v[42:43], v[114:115]
	s_mov_b32 s10, 0xeb564b22
	s_mov_b32 s11, 0xbfefdd0d
	;; [unrolled: 1-line block ×3, first 2 shown]
	s_delay_alu instid0(VALU_DEP_1) | instskip(SKIP_1) | instid1(VALU_DEP_1)
	v_fma_f64 v[14:15], v[40:41], v[112:113], -v[0:1]
	v_mul_f64 v[0:1], v[40:41], v[114:115]
	v_fma_f64 v[10:11], v[42:43], v[112:113], v[0:1]
	v_mul_f64 v[0:1], v[46:47], v[110:111]
	s_delay_alu instid0(VALU_DEP_1) | instskip(SKIP_1) | instid1(VALU_DEP_1)
	v_fma_f64 v[6:7], v[44:45], v[108:109], -v[0:1]
	v_mul_f64 v[0:1], v[44:45], v[110:111]
	v_fma_f64 v[0:1], v[46:47], v[108:109], v[0:1]
	s_waitcnt vmcnt(3) lgkmcnt(0)
	v_mul_f64 v[46:47], v[222:223], v[154:155]
	v_mul_f64 v[58:59], v[220:221], v[154:155]
	s_waitcnt vmcnt(1)
	v_mul_f64 v[38:39], v[246:247], v[142:143]
	s_waitcnt vmcnt(0)
	v_mul_f64 v[32:33], v[242:243], v[198:199]
	v_mul_f64 v[42:43], v[250:251], v[150:151]
	v_fma_f64 v[46:47], v[220:221], v[152:153], -v[46:47]
	v_add_f64 v[220:221], v[224:225], v[54:55]
	v_fma_f64 v[58:59], v[222:223], v[152:153], v[58:59]
	v_add_f64 v[222:223], v[226:227], v[56:57]
	v_fma_f64 v[36:37], v[240:241], v[196:197], -v[32:33]
	v_mul_f64 v[32:33], v[240:241], v[198:199]
	v_fma_f64 v[40:41], v[244:245], v[140:141], -v[38:39]
	v_mul_f64 v[38:39], v[244:245], v[142:143]
	;; [unrolled: 2-line block ×3, first 2 shown]
	v_add_f64 v[240:241], v[54:55], v[46:47]
	v_add_f64 v[220:221], v[220:221], v[236:237]
	;; [unrolled: 1-line block ×3, first 2 shown]
	v_fma_f64 v[32:33], v[242:243], v[196:197], v[32:33]
	v_add_f64 v[242:243], v[56:57], v[58:59]
	v_fma_f64 v[38:39], v[246:247], v[140:141], v[38:39]
	v_add_f64 v[82:83], v[236:237], v[44:45]
	;; [unrolled: 2-line block ×3, first 2 shown]
	v_add_f64 v[222:223], v[222:223], v[34:35]
	s_delay_alu instid0(VALU_DEP_2) | instskip(NEXT) | instid1(VALU_DEP_2)
	v_add_f64 v[220:221], v[220:221], v[232:233]
	v_add_f64 v[222:223], v[222:223], v[230:231]
	s_delay_alu instid0(VALU_DEP_2) | instskip(NEXT) | instid1(VALU_DEP_2)
	v_add_f64 v[220:221], v[220:221], v[30:31]
	;; [unrolled: 3-line block ×11, first 2 shown]
	v_add_f64 v[222:223], v[222:223], v[38:39]
	s_delay_alu instid0(VALU_DEP_2) | instskip(SKIP_1) | instid1(VALU_DEP_3)
	v_add_f64 v[220:221], v[220:221], v[44:45]
	v_add_f64 v[44:45], v[236:237], -v[44:45]
	v_add_f64 v[222:223], v[222:223], v[42:43]
	s_delay_alu instid0(VALU_DEP_3) | instskip(SKIP_1) | instid1(VALU_DEP_3)
	v_add_f64 v[60:61], v[220:221], v[46:47]
	v_add_f64 v[46:47], v[54:55], -v[46:47]
	v_add_f64 v[62:63], v[222:223], v[58:59]
	v_add_f64 v[54:55], v[56:57], -v[58:59]
	s_delay_alu instid0(VALU_DEP_3)
	v_mul_f64 v[222:223], v[46:47], s[10:11]
	scratch_store_b128 off, v[60:63], off offset:364 ; 16-byte Folded Spill
	v_mul_f64 v[56:57], v[54:55], s[30:31]
	v_mul_f64 v[248:249], v[54:55], s[22:23]
	;; [unrolled: 1-line block ×11, first 2 shown]
	v_fma_f64 v[204:205], v[242:243], s[8:9], v[222:223]
	v_fma_f64 v[206:207], v[242:243], s[8:9], -v[222:223]
	v_mul_f64 v[222:223], v[54:55], s[12:13]
	v_fma_f64 v[58:59], v[240:241], s[28:29], -v[56:57]
	v_fma_f64 v[56:57], v[240:241], s[28:29], v[56:57]
	v_fma_f64 v[250:251], v[240:241], s[20:21], -v[248:249]
	v_fma_f64 v[248:249], v[240:241], s[20:21], v[248:249]
	;; [unrolled: 2-line block ×4, first 2 shown]
	v_fma_f64 v[246:247], v[242:243], s[28:29], v[244:245]
	v_fma_f64 v[244:245], v[242:243], s[28:29], -v[244:245]
	v_fma_f64 v[254:255], v[242:243], s[20:21], v[252:253]
	v_fma_f64 v[252:253], v[242:243], s[20:21], -v[252:253]
	;; [unrolled: 2-line block ×7, first 2 shown]
	v_mul_f64 v[242:243], v[44:45], s[10:11]
	v_add_f64 v[204:205], v[226:227], v[204:205]
	v_add_f64 v[206:207], v[226:227], v[206:207]
	v_fma_f64 v[208:209], v[240:241], s[14:15], -v[222:223]
	v_fma_f64 v[214:215], v[240:241], s[14:15], v[222:223]
	v_mul_f64 v[222:223], v[54:55], s[24:25]
	v_add_f64 v[58:59], v[224:225], v[58:59]
	v_add_f64 v[56:57], v[224:225], v[56:57]
	;; [unrolled: 1-line block ×24, first 2 shown]
	v_fma_f64 v[216:217], v[240:241], s[26:27], -v[222:223]
	v_fma_f64 v[70:71], v[240:241], s[26:27], v[222:223]
	v_mul_f64 v[222:223], v[54:55], s[38:39]
	v_mul_f64 v[54:55], v[54:55], s[42:43]
	s_delay_alu instid0(VALU_DEP_4) | instskip(NEXT) | instid1(VALU_DEP_4)
	v_add_f64 v[216:217], v[224:225], v[216:217]
	v_add_f64 v[70:71], v[224:225], v[70:71]
	s_delay_alu instid0(VALU_DEP_4) | instskip(SKIP_3) | instid1(VALU_DEP_4)
	v_fma_f64 v[72:73], v[240:241], s[40:41], -v[222:223]
	v_fma_f64 v[78:79], v[240:241], s[40:41], v[222:223]
	v_fma_f64 v[222:223], v[240:241], s[46:47], -v[54:55]
	v_fma_f64 v[54:55], v[240:241], s[46:47], v[54:55]
	v_add_f64 v[72:73], v[224:225], v[72:73]
	s_delay_alu instid0(VALU_DEP_4) | instskip(NEXT) | instid1(VALU_DEP_4)
	v_add_f64 v[78:79], v[224:225], v[78:79]
	v_add_f64 v[222:223], v[224:225], v[222:223]
	s_delay_alu instid0(VALU_DEP_4) | instskip(SKIP_2) | instid1(VALU_DEP_1)
	v_add_f64 v[54:55], v[224:225], v[54:55]
	v_add_f64 v[224:225], v[238:239], v[42:43]
	v_add_f64 v[42:43], v[238:239], -v[42:43]
	v_mul_f64 v[226:227], v[42:43], s[22:23]
	s_delay_alu instid0(VALU_DEP_1) | instskip(SKIP_1) | instid1(VALU_DEP_2)
	v_fma_f64 v[236:237], v[82:83], s[20:21], -v[226:227]
	v_fma_f64 v[226:227], v[82:83], s[20:21], v[226:227]
	v_add_f64 v[58:59], v[236:237], v[58:59]
	v_mul_f64 v[236:237], v[44:45], s[22:23]
	s_delay_alu instid0(VALU_DEP_3) | instskip(NEXT) | instid1(VALU_DEP_2)
	v_add_f64 v[56:57], v[226:227], v[56:57]
	v_fma_f64 v[238:239], v[224:225], s[20:21], v[236:237]
	v_fma_f64 v[226:227], v[224:225], s[20:21], -v[236:237]
	v_mul_f64 v[236:237], v[42:43], s[10:11]
	s_delay_alu instid0(VALU_DEP_3) | instskip(SKIP_1) | instid1(VALU_DEP_3)
	v_add_f64 v[238:239], v[238:239], v[246:247]
	v_mul_f64 v[246:247], v[42:43], s[24:25]
	v_fma_f64 v[240:241], v[82:83], s[8:9], -v[236:237]
	v_fma_f64 v[236:237], v[82:83], s[8:9], v[236:237]
	v_add_f64 v[226:227], v[226:227], v[244:245]
	v_fma_f64 v[244:245], v[224:225], s[8:9], v[242:243]
	v_fma_f64 v[242:243], v[224:225], s[8:9], -v[242:243]
	v_add_f64 v[240:241], v[240:241], v[250:251]
	v_add_f64 v[236:237], v[236:237], v[248:249]
	v_fma_f64 v[248:249], v[82:83], s[26:27], -v[246:247]
	v_fma_f64 v[246:247], v[82:83], s[26:27], v[246:247]
	v_add_f64 v[242:243], v[242:243], v[252:253]
	v_add_f64 v[244:245], v[244:245], v[254:255]
	s_delay_alu instid0(VALU_DEP_4) | instskip(SKIP_2) | instid1(VALU_DEP_2)
	v_add_f64 v[62:63], v[248:249], v[62:63]
	v_mul_f64 v[248:249], v[44:45], s[24:25]
	v_add_f64 v[60:61], v[246:247], v[60:61]
	v_fma_f64 v[246:247], v[224:225], s[26:27], -v[248:249]
	v_fma_f64 v[250:251], v[224:225], s[26:27], v[248:249]
	s_delay_alu instid0(VALU_DEP_2) | instskip(SKIP_1) | instid1(VALU_DEP_3)
	v_add_f64 v[64:65], v[246:247], v[64:65]
	v_mul_f64 v[246:247], v[42:43], s[42:43]
	v_add_f64 v[66:67], v[250:251], v[66:67]
	s_delay_alu instid0(VALU_DEP_2) | instskip(SKIP_1) | instid1(VALU_DEP_2)
	v_fma_f64 v[248:249], v[82:83], s[46:47], -v[246:247]
	v_fma_f64 v[246:247], v[82:83], s[46:47], v[246:247]
	v_add_f64 v[220:221], v[248:249], v[220:221]
	v_mul_f64 v[248:249], v[44:45], s[42:43]
	s_delay_alu instid0(VALU_DEP_3) | instskip(NEXT) | instid1(VALU_DEP_2)
	v_add_f64 v[4:5], v[246:247], v[4:5]
	v_fma_f64 v[246:247], v[224:225], s[46:47], -v[248:249]
	v_fma_f64 v[250:251], v[224:225], s[46:47], v[248:249]
	s_delay_alu instid0(VALU_DEP_2) | instskip(SKIP_1) | instid1(VALU_DEP_3)
	v_add_f64 v[206:207], v[246:247], v[206:207]
	v_mul_f64 v[246:247], v[42:43], s[44:45]
	v_add_f64 v[204:205], v[250:251], v[204:205]
	s_delay_alu instid0(VALU_DEP_2) | instskip(SKIP_1) | instid1(VALU_DEP_2)
	v_fma_f64 v[248:249], v[82:83], s[40:41], -v[246:247]
	v_fma_f64 v[246:247], v[82:83], s[40:41], v[246:247]
	v_add_f64 v[208:209], v[248:249], v[208:209]
	v_mul_f64 v[248:249], v[44:45], s[44:45]
	s_delay_alu instid0(VALU_DEP_3) | instskip(NEXT) | instid1(VALU_DEP_2)
	;; [unrolled: 13-line block ×3, first 2 shown]
	v_add_f64 v[70:71], v[246:247], v[70:71]
	v_fma_f64 v[246:247], v[224:225], s[14:15], -v[248:249]
	v_fma_f64 v[250:251], v[224:225], s[14:15], v[248:249]
	s_delay_alu instid0(VALU_DEP_2) | instskip(SKIP_2) | instid1(VALU_DEP_4)
	v_add_f64 v[218:219], v[246:247], v[218:219]
	v_mul_f64 v[246:247], v[42:43], s[36:37]
	v_mul_f64 v[42:43], v[42:43], s[48:49]
	v_add_f64 v[68:69], v[250:251], v[68:69]
	s_delay_alu instid0(VALU_DEP_3) | instskip(SKIP_1) | instid1(VALU_DEP_2)
	v_fma_f64 v[248:249], v[82:83], s[16:17], -v[246:247]
	v_fma_f64 v[246:247], v[82:83], s[16:17], v[246:247]
	v_add_f64 v[72:73], v[248:249], v[72:73]
	v_mul_f64 v[248:249], v[44:45], s[36:37]
	s_delay_alu instid0(VALU_DEP_3) | instskip(SKIP_1) | instid1(VALU_DEP_3)
	v_add_f64 v[78:79], v[246:247], v[78:79]
	v_mul_f64 v[44:45], v[44:45], s[48:49]
	v_fma_f64 v[246:247], v[224:225], s[16:17], -v[248:249]
	v_fma_f64 v[250:251], v[224:225], s[16:17], v[248:249]
	s_delay_alu instid0(VALU_DEP_2) | instskip(SKIP_2) | instid1(VALU_DEP_4)
	v_add_f64 v[74:75], v[246:247], v[74:75]
	v_fma_f64 v[246:247], v[82:83], s[28:29], -v[42:43]
	v_fma_f64 v[42:43], v[82:83], s[28:29], v[42:43]
	v_add_f64 v[76:77], v[250:251], v[76:77]
	s_delay_alu instid0(VALU_DEP_3) | instskip(SKIP_1) | instid1(VALU_DEP_4)
	v_add_f64 v[222:223], v[246:247], v[222:223]
	v_fma_f64 v[246:247], v[224:225], s[28:29], v[44:45]
	v_add_f64 v[42:43], v[42:43], v[54:55]
	v_fma_f64 v[44:45], v[224:225], s[28:29], -v[44:45]
	v_add_f64 v[54:55], v[34:35], v[38:39]
	v_add_f64 v[34:35], v[34:35], -v[38:39]
	v_add_f64 v[80:81], v[246:247], v[80:81]
	s_delay_alu instid0(VALU_DEP_4) | instskip(SKIP_1) | instid1(VALU_DEP_4)
	v_add_f64 v[44:45], v[44:45], v[46:47]
	v_add_f64 v[46:47], v[234:235], v[40:41]
	v_mul_f64 v[38:39], v[34:35], s[18:19]
	v_add_f64 v[40:41], v[234:235], -v[40:41]
	s_delay_alu instid0(VALU_DEP_2) | instskip(SKIP_1) | instid1(VALU_DEP_3)
	v_fma_f64 v[82:83], v[46:47], s[16:17], -v[38:39]
	v_fma_f64 v[38:39], v[46:47], s[16:17], v[38:39]
	v_mul_f64 v[234:235], v[40:41], s[24:25]
	s_delay_alu instid0(VALU_DEP_3) | instskip(SKIP_1) | instid1(VALU_DEP_4)
	v_add_f64 v[58:59], v[82:83], v[58:59]
	v_mul_f64 v[82:83], v[40:41], s[18:19]
	v_add_f64 v[38:39], v[38:39], v[56:57]
	s_delay_alu instid0(VALU_DEP_2) | instskip(SKIP_2) | instid1(VALU_DEP_3)
	v_fma_f64 v[224:225], v[54:55], s[16:17], v[82:83]
	v_fma_f64 v[56:57], v[54:55], s[16:17], -v[82:83]
	v_mul_f64 v[82:83], v[34:35], s[24:25]
	v_add_f64 v[224:225], v[224:225], v[238:239]
	s_delay_alu instid0(VALU_DEP_3) | instskip(NEXT) | instid1(VALU_DEP_3)
	v_add_f64 v[56:57], v[56:57], v[226:227]
	v_fma_f64 v[226:227], v[46:47], s[26:27], -v[82:83]
	v_fma_f64 v[82:83], v[46:47], s[26:27], v[82:83]
	v_fma_f64 v[238:239], v[54:55], s[26:27], v[234:235]
	v_fma_f64 v[234:235], v[54:55], s[26:27], -v[234:235]
	s_delay_alu instid0(VALU_DEP_4) | instskip(NEXT) | instid1(VALU_DEP_4)
	v_add_f64 v[226:227], v[226:227], v[240:241]
	v_add_f64 v[82:83], v[82:83], v[236:237]
	v_mul_f64 v[236:237], v[34:35], s[54:55]
	s_delay_alu instid0(VALU_DEP_4) | instskip(SKIP_1) | instid1(VALU_DEP_3)
	v_add_f64 v[234:235], v[234:235], v[242:243]
	v_add_f64 v[238:239], v[238:239], v[244:245]
	v_fma_f64 v[240:241], v[46:47], s[46:47], -v[236:237]
	v_fma_f64 v[236:237], v[46:47], s[46:47], v[236:237]
	s_delay_alu instid0(VALU_DEP_2) | instskip(SKIP_1) | instid1(VALU_DEP_3)
	v_add_f64 v[62:63], v[240:241], v[62:63]
	v_mul_f64 v[240:241], v[40:41], s[54:55]
	v_add_f64 v[60:61], v[236:237], v[60:61]
	s_delay_alu instid0(VALU_DEP_2) | instskip(SKIP_1) | instid1(VALU_DEP_2)
	v_fma_f64 v[236:237], v[54:55], s[46:47], -v[240:241]
	v_fma_f64 v[242:243], v[54:55], s[46:47], v[240:241]
	v_add_f64 v[64:65], v[236:237], v[64:65]
	v_mul_f64 v[236:237], v[34:35], s[34:35]
	s_delay_alu instid0(VALU_DEP_3) | instskip(NEXT) | instid1(VALU_DEP_2)
	v_add_f64 v[66:67], v[242:243], v[66:67]
	v_fma_f64 v[240:241], v[46:47], s[14:15], -v[236:237]
	v_fma_f64 v[236:237], v[46:47], s[14:15], v[236:237]
	s_delay_alu instid0(VALU_DEP_2) | instskip(SKIP_1) | instid1(VALU_DEP_3)
	v_add_f64 v[220:221], v[240:241], v[220:221]
	v_mul_f64 v[240:241], v[40:41], s[34:35]
	v_add_f64 v[4:5], v[236:237], v[4:5]
	s_delay_alu instid0(VALU_DEP_2) | instskip(SKIP_1) | instid1(VALU_DEP_2)
	v_fma_f64 v[236:237], v[54:55], s[14:15], -v[240:241]
	v_fma_f64 v[242:243], v[54:55], s[14:15], v[240:241]
	v_add_f64 v[206:207], v[236:237], v[206:207]
	v_mul_f64 v[236:237], v[34:35], s[50:51]
	s_delay_alu instid0(VALU_DEP_3) | instskip(NEXT) | instid1(VALU_DEP_2)
	;; [unrolled: 13-line block ×3, first 2 shown]
	v_add_f64 v[212:213], v[242:243], v[212:213]
	v_fma_f64 v[240:241], v[46:47], s[28:29], -v[236:237]
	v_fma_f64 v[236:237], v[46:47], s[28:29], v[236:237]
	s_delay_alu instid0(VALU_DEP_2) | instskip(SKIP_1) | instid1(VALU_DEP_3)
	v_add_f64 v[216:217], v[240:241], v[216:217]
	v_mul_f64 v[240:241], v[40:41], s[30:31]
	v_add_f64 v[70:71], v[236:237], v[70:71]
	s_delay_alu instid0(VALU_DEP_2) | instskip(SKIP_1) | instid1(VALU_DEP_2)
	v_fma_f64 v[236:237], v[54:55], s[28:29], -v[240:241]
	v_fma_f64 v[242:243], v[54:55], s[28:29], v[240:241]
	v_add_f64 v[218:219], v[236:237], v[218:219]
	v_mul_f64 v[236:237], v[34:35], s[10:11]
	v_mul_f64 v[34:35], v[34:35], s[38:39]
	s_delay_alu instid0(VALU_DEP_4) | instskip(NEXT) | instid1(VALU_DEP_3)
	v_add_f64 v[68:69], v[242:243], v[68:69]
	v_fma_f64 v[240:241], v[46:47], s[8:9], -v[236:237]
	v_fma_f64 v[236:237], v[46:47], s[8:9], v[236:237]
	s_delay_alu instid0(VALU_DEP_2) | instskip(SKIP_1) | instid1(VALU_DEP_3)
	v_add_f64 v[72:73], v[240:241], v[72:73]
	v_mul_f64 v[240:241], v[40:41], s[10:11]
	v_add_f64 v[78:79], v[236:237], v[78:79]
	v_mul_f64 v[40:41], v[40:41], s[38:39]
	s_delay_alu instid0(VALU_DEP_3) | instskip(SKIP_1) | instid1(VALU_DEP_2)
	v_fma_f64 v[236:237], v[54:55], s[8:9], -v[240:241]
	v_fma_f64 v[242:243], v[54:55], s[8:9], v[240:241]
	v_add_f64 v[74:75], v[236:237], v[74:75]
	v_fma_f64 v[236:237], v[46:47], s[40:41], -v[34:35]
	v_fma_f64 v[34:35], v[46:47], s[40:41], v[34:35]
	s_delay_alu instid0(VALU_DEP_4) | instskip(NEXT) | instid1(VALU_DEP_3)
	v_add_f64 v[76:77], v[242:243], v[76:77]
	v_add_f64 v[222:223], v[236:237], v[222:223]
	v_fma_f64 v[236:237], v[54:55], s[40:41], v[40:41]
	v_fma_f64 v[40:41], v[54:55], s[40:41], -v[40:41]
	v_add_f64 v[34:35], v[34:35], v[42:43]
	v_add_f64 v[42:43], v[232:233], v[36:37]
	v_add_f64 v[36:37], v[232:233], -v[36:37]
	v_add_f64 v[80:81], v[236:237], v[80:81]
	v_add_f64 v[40:41], v[40:41], v[44:45]
	;; [unrolled: 1-line block ×3, first 2 shown]
	v_add_f64 v[32:33], v[230:231], -v[32:33]
	s_delay_alu instid0(VALU_DEP_1) | instskip(NEXT) | instid1(VALU_DEP_1)
	v_mul_f64 v[46:47], v[32:33], s[10:11]
	v_fma_f64 v[54:55], v[42:43], s[8:9], -v[46:47]
	v_fma_f64 v[46:47], v[42:43], s[8:9], v[46:47]
	s_delay_alu instid0(VALU_DEP_2) | instskip(SKIP_1) | instid1(VALU_DEP_3)
	v_add_f64 v[54:55], v[54:55], v[58:59]
	v_mul_f64 v[58:59], v[36:37], s[10:11]
	v_add_f64 v[38:39], v[46:47], v[38:39]
	s_delay_alu instid0(VALU_DEP_2) | instskip(SKIP_1) | instid1(VALU_DEP_2)
	v_fma_f64 v[46:47], v[44:45], s[8:9], -v[58:59]
	v_fma_f64 v[230:231], v[44:45], s[8:9], v[58:59]
	v_add_f64 v[46:47], v[46:47], v[56:57]
	v_mul_f64 v[56:57], v[32:33], s[42:43]
	s_delay_alu instid0(VALU_DEP_3) | instskip(NEXT) | instid1(VALU_DEP_2)
	v_add_f64 v[224:225], v[230:231], v[224:225]
	v_fma_f64 v[58:59], v[42:43], s[46:47], -v[56:57]
	v_fma_f64 v[56:57], v[42:43], s[46:47], v[56:57]
	s_delay_alu instid0(VALU_DEP_2) | instskip(SKIP_1) | instid1(VALU_DEP_3)
	v_add_f64 v[58:59], v[58:59], v[226:227]
	v_mul_f64 v[226:227], v[36:37], s[42:43]
	v_add_f64 v[56:57], v[56:57], v[82:83]
	s_delay_alu instid0(VALU_DEP_2) | instskip(SKIP_2) | instid1(VALU_DEP_3)
	v_fma_f64 v[230:231], v[44:45], s[46:47], v[226:227]
	v_fma_f64 v[82:83], v[44:45], s[46:47], -v[226:227]
	v_mul_f64 v[226:227], v[32:33], s[34:35]
	v_add_f64 v[230:231], v[230:231], v[238:239]
	s_delay_alu instid0(VALU_DEP_3) | instskip(NEXT) | instid1(VALU_DEP_3)
	v_add_f64 v[82:83], v[82:83], v[234:235]
	v_fma_f64 v[232:233], v[42:43], s[14:15], -v[226:227]
	v_fma_f64 v[226:227], v[42:43], s[14:15], v[226:227]
	s_delay_alu instid0(VALU_DEP_2) | instskip(SKIP_1) | instid1(VALU_DEP_3)
	v_add_f64 v[62:63], v[232:233], v[62:63]
	v_mul_f64 v[232:233], v[36:37], s[34:35]
	v_add_f64 v[60:61], v[226:227], v[60:61]
	s_delay_alu instid0(VALU_DEP_2) | instskip(SKIP_1) | instid1(VALU_DEP_2)
	v_fma_f64 v[226:227], v[44:45], s[14:15], -v[232:233]
	v_fma_f64 v[234:235], v[44:45], s[14:15], v[232:233]
	v_add_f64 v[64:65], v[226:227], v[64:65]
	v_mul_f64 v[226:227], v[32:33], s[48:49]
	s_delay_alu instid0(VALU_DEP_3) | instskip(NEXT) | instid1(VALU_DEP_2)
	v_add_f64 v[66:67], v[234:235], v[66:67]
	v_fma_f64 v[232:233], v[42:43], s[28:29], -v[226:227]
	v_fma_f64 v[226:227], v[42:43], s[28:29], v[226:227]
	s_delay_alu instid0(VALU_DEP_2) | instskip(SKIP_1) | instid1(VALU_DEP_3)
	v_add_f64 v[220:221], v[232:233], v[220:221]
	v_mul_f64 v[232:233], v[36:37], s[48:49]
	v_add_f64 v[4:5], v[226:227], v[4:5]
	s_delay_alu instid0(VALU_DEP_2) | instskip(SKIP_1) | instid1(VALU_DEP_2)
	v_fma_f64 v[226:227], v[44:45], s[28:29], -v[232:233]
	v_fma_f64 v[234:235], v[44:45], s[28:29], v[232:233]
	v_add_f64 v[206:207], v[226:227], v[206:207]
	v_mul_f64 v[226:227], v[32:33], s[18:19]
	s_delay_alu instid0(VALU_DEP_3) | instskip(NEXT) | instid1(VALU_DEP_2)
	v_add_f64 v[204:205], v[234:235], v[204:205]
	v_fma_f64 v[232:233], v[42:43], s[16:17], -v[226:227]
	v_fma_f64 v[226:227], v[42:43], s[16:17], v[226:227]
	s_delay_alu instid0(VALU_DEP_2) | instskip(SKIP_1) | instid1(VALU_DEP_3)
	v_add_f64 v[208:209], v[232:233], v[208:209]
	v_mul_f64 v[232:233], v[36:37], s[18:19]
	v_add_f64 v[214:215], v[226:227], v[214:215]
	s_delay_alu instid0(VALU_DEP_2) | instskip(SKIP_1) | instid1(VALU_DEP_2)
	v_fma_f64 v[226:227], v[44:45], s[16:17], -v[232:233]
	v_fma_f64 v[234:235], v[44:45], s[16:17], v[232:233]
	v_add_f64 v[210:211], v[226:227], v[210:211]
	v_mul_f64 v[226:227], v[32:33], s[38:39]
	s_delay_alu instid0(VALU_DEP_3) | instskip(NEXT) | instid1(VALU_DEP_2)
	v_add_f64 v[212:213], v[234:235], v[212:213]
	v_fma_f64 v[232:233], v[42:43], s[40:41], -v[226:227]
	v_fma_f64 v[226:227], v[42:43], s[40:41], v[226:227]
	s_delay_alu instid0(VALU_DEP_2) | instskip(SKIP_1) | instid1(VALU_DEP_3)
	v_add_f64 v[216:217], v[232:233], v[216:217]
	v_mul_f64 v[232:233], v[36:37], s[38:39]
	v_add_f64 v[70:71], v[226:227], v[70:71]
	s_delay_alu instid0(VALU_DEP_2) | instskip(SKIP_1) | instid1(VALU_DEP_2)
	v_fma_f64 v[226:227], v[44:45], s[40:41], -v[232:233]
	v_fma_f64 v[234:235], v[44:45], s[40:41], v[232:233]
	v_add_f64 v[218:219], v[226:227], v[218:219]
	v_mul_f64 v[226:227], v[32:33], s[56:57]
	v_mul_f64 v[32:33], v[32:33], s[50:51]
	s_delay_alu instid0(VALU_DEP_4) | instskip(NEXT) | instid1(VALU_DEP_3)
	v_add_f64 v[68:69], v[234:235], v[68:69]
	v_fma_f64 v[232:233], v[42:43], s[26:27], -v[226:227]
	v_fma_f64 v[226:227], v[42:43], s[26:27], v[226:227]
	s_delay_alu instid0(VALU_DEP_2) | instskip(SKIP_1) | instid1(VALU_DEP_3)
	v_add_f64 v[72:73], v[232:233], v[72:73]
	v_mul_f64 v[232:233], v[36:37], s[56:57]
	v_add_f64 v[78:79], v[226:227], v[78:79]
	v_mul_f64 v[36:37], v[36:37], s[50:51]
	s_delay_alu instid0(VALU_DEP_3) | instskip(SKIP_1) | instid1(VALU_DEP_2)
	v_fma_f64 v[226:227], v[44:45], s[26:27], -v[232:233]
	v_fma_f64 v[234:235], v[44:45], s[26:27], v[232:233]
	v_add_f64 v[74:75], v[226:227], v[74:75]
	v_fma_f64 v[226:227], v[42:43], s[20:21], -v[32:33]
	v_fma_f64 v[32:33], v[42:43], s[20:21], v[32:33]
	s_delay_alu instid0(VALU_DEP_4) | instskip(NEXT) | instid1(VALU_DEP_3)
	v_add_f64 v[76:77], v[234:235], v[76:77]
	v_add_f64 v[222:223], v[226:227], v[222:223]
	s_delay_alu instid0(VALU_DEP_3) | instskip(SKIP_4) | instid1(VALU_DEP_4)
	v_add_f64 v[32:33], v[32:33], v[34:35]
	v_fma_f64 v[34:35], v[44:45], s[20:21], -v[36:37]
	v_fma_f64 v[226:227], v[44:45], s[20:21], v[36:37]
	v_add_f64 v[36:37], v[30:31], v[228:229]
	v_add_f64 v[30:31], v[30:31], -v[228:229]
	v_add_f64 v[34:35], v[34:35], v[40:41]
	v_add_f64 v[40:41], v[26:27], v[28:29]
	v_add_f64 v[26:27], v[26:27], -v[28:29]
	s_delay_alu instid0(VALU_DEP_4) | instskip(SKIP_1) | instid1(VALU_DEP_3)
	v_mul_f64 v[44:45], v[30:31], s[12:13]
	v_add_f64 v[80:81], v[226:227], v[80:81]
	v_mul_f64 v[28:29], v[26:27], s[12:13]
	s_delay_alu instid0(VALU_DEP_1) | instskip(SKIP_1) | instid1(VALU_DEP_2)
	v_fma_f64 v[42:43], v[36:37], s[14:15], -v[28:29]
	v_fma_f64 v[28:29], v[36:37], s[14:15], v[28:29]
	v_add_f64 v[42:43], v[42:43], v[54:55]
	v_fma_f64 v[54:55], v[40:41], s[14:15], v[44:45]
	s_delay_alu instid0(VALU_DEP_3) | instskip(SKIP_2) | instid1(VALU_DEP_4)
	v_add_f64 v[28:29], v[28:29], v[38:39]
	v_fma_f64 v[38:39], v[40:41], s[14:15], -v[44:45]
	v_mul_f64 v[44:45], v[26:27], s[44:45]
	v_add_f64 v[54:55], v[54:55], v[224:225]
	s_delay_alu instid0(VALU_DEP_3) | instskip(NEXT) | instid1(VALU_DEP_3)
	v_add_f64 v[38:39], v[38:39], v[46:47]
	v_fma_f64 v[46:47], v[36:37], s[40:41], -v[44:45]
	v_fma_f64 v[44:45], v[36:37], s[40:41], v[44:45]
	s_delay_alu instid0(VALU_DEP_2) | instskip(SKIP_1) | instid1(VALU_DEP_3)
	v_add_f64 v[46:47], v[46:47], v[58:59]
	v_mul_f64 v[58:59], v[30:31], s[44:45]
	v_add_f64 v[44:45], v[44:45], v[56:57]
	s_delay_alu instid0(VALU_DEP_2) | instskip(SKIP_2) | instid1(VALU_DEP_3)
	v_fma_f64 v[224:225], v[40:41], s[40:41], v[58:59]
	v_fma_f64 v[56:57], v[40:41], s[40:41], -v[58:59]
	v_mul_f64 v[58:59], v[26:27], s[50:51]
	v_add_f64 v[224:225], v[224:225], v[230:231]
	s_delay_alu instid0(VALU_DEP_3) | instskip(NEXT) | instid1(VALU_DEP_3)
	v_add_f64 v[56:57], v[56:57], v[82:83]
	v_fma_f64 v[82:83], v[36:37], s[20:21], -v[58:59]
	v_fma_f64 v[58:59], v[36:37], s[20:21], v[58:59]
	s_delay_alu instid0(VALU_DEP_2) | instskip(SKIP_1) | instid1(VALU_DEP_3)
	v_add_f64 v[62:63], v[82:83], v[62:63]
	v_mul_f64 v[82:83], v[30:31], s[50:51]
	v_add_f64 v[58:59], v[58:59], v[60:61]
	s_delay_alu instid0(VALU_DEP_2) | instskip(SKIP_1) | instid1(VALU_DEP_2)
	v_fma_f64 v[60:61], v[40:41], s[20:21], -v[82:83]
	v_fma_f64 v[226:227], v[40:41], s[20:21], v[82:83]
	v_add_f64 v[60:61], v[60:61], v[64:65]
	v_mul_f64 v[64:65], v[26:27], s[18:19]
	s_delay_alu instid0(VALU_DEP_3) | instskip(NEXT) | instid1(VALU_DEP_2)
	v_add_f64 v[66:67], v[226:227], v[66:67]
	v_fma_f64 v[82:83], v[36:37], s[16:17], -v[64:65]
	v_fma_f64 v[64:65], v[36:37], s[16:17], v[64:65]
	s_delay_alu instid0(VALU_DEP_2) | instskip(SKIP_1) | instid1(VALU_DEP_3)
	v_add_f64 v[82:83], v[82:83], v[220:221]
	v_mul_f64 v[220:221], v[30:31], s[18:19]
	v_add_f64 v[4:5], v[64:65], v[4:5]
	s_delay_alu instid0(VALU_DEP_2) | instskip(SKIP_1) | instid1(VALU_DEP_2)
	v_fma_f64 v[64:65], v[40:41], s[16:17], -v[220:221]
	v_fma_f64 v[226:227], v[40:41], s[16:17], v[220:221]
	v_add_f64 v[64:65], v[64:65], v[206:207]
	v_mul_f64 v[206:207], v[26:27], s[42:43]
	s_delay_alu instid0(VALU_DEP_3) | instskip(NEXT) | instid1(VALU_DEP_2)
	;; [unrolled: 13-line block ×3, first 2 shown]
	v_add_f64 v[212:213], v[226:227], v[212:213]
	v_fma_f64 v[220:221], v[36:37], s[8:9], -v[214:215]
	v_fma_f64 v[214:215], v[36:37], s[8:9], v[214:215]
	s_delay_alu instid0(VALU_DEP_2) | instskip(SKIP_1) | instid1(VALU_DEP_3)
	v_add_f64 v[216:217], v[220:221], v[216:217]
	v_mul_f64 v[220:221], v[30:31], s[52:53]
	v_add_f64 v[70:71], v[214:215], v[70:71]
	s_delay_alu instid0(VALU_DEP_2) | instskip(SKIP_1) | instid1(VALU_DEP_2)
	v_fma_f64 v[214:215], v[40:41], s[8:9], -v[220:221]
	v_fma_f64 v[226:227], v[40:41], s[8:9], v[220:221]
	v_add_f64 v[214:215], v[214:215], v[218:219]
	v_mul_f64 v[218:219], v[26:27], s[30:31]
	s_delay_alu instid0(VALU_DEP_3) | instskip(SKIP_1) | instid1(VALU_DEP_3)
	v_add_f64 v[68:69], v[226:227], v[68:69]
	v_mul_f64 v[26:27], v[26:27], s[24:25]
	v_fma_f64 v[220:221], v[36:37], s[28:29], -v[218:219]
	v_fma_f64 v[218:219], v[36:37], s[28:29], v[218:219]
	s_delay_alu instid0(VALU_DEP_2) | instskip(SKIP_2) | instid1(VALU_DEP_4)
	v_add_f64 v[72:73], v[220:221], v[72:73]
	v_mul_f64 v[220:221], v[30:31], s[30:31]
	v_mul_f64 v[30:31], v[30:31], s[24:25]
	v_add_f64 v[78:79], v[218:219], v[78:79]
	s_delay_alu instid0(VALU_DEP_3) | instskip(SKIP_1) | instid1(VALU_DEP_4)
	v_fma_f64 v[226:227], v[40:41], s[28:29], v[220:221]
	v_fma_f64 v[218:219], v[40:41], s[28:29], -v[220:221]
	v_fma_f64 v[220:221], v[40:41], s[26:27], v[30:31]
	v_fma_f64 v[30:31], v[40:41], s[26:27], -v[30:31]
	s_delay_alu instid0(VALU_DEP_4) | instskip(NEXT) | instid1(VALU_DEP_4)
	v_add_f64 v[76:77], v[226:227], v[76:77]
	v_add_f64 v[74:75], v[218:219], v[74:75]
	v_fma_f64 v[218:219], v[36:37], s[26:27], -v[26:27]
	v_fma_f64 v[26:27], v[36:37], s[26:27], v[26:27]
	v_add_f64 v[30:31], v[30:31], v[34:35]
	v_add_f64 v[34:35], v[18:19], v[20:21]
	v_add_f64 v[18:19], v[18:19], -v[20:21]
	v_add_f64 v[80:81], v[220:221], v[80:81]
	v_add_f64 v[220:221], v[10:11], v[12:13]
	v_add_f64 v[10:11], v[10:11], -v[12:13]
	v_add_f64 v[218:219], v[218:219], v[222:223]
	v_add_f64 v[26:27], v[26:27], v[32:33]
	;; [unrolled: 1-line block ×3, first 2 shown]
	v_add_f64 v[22:23], v[22:23], -v[24:25]
	v_mul_f64 v[20:21], v[18:19], s[24:25]
	v_mul_f64 v[12:13], v[10:11], s[38:39]
	s_delay_alu instid0(VALU_DEP_3) | instskip(NEXT) | instid1(VALU_DEP_3)
	v_mul_f64 v[36:37], v[22:23], s[24:25]
	v_fma_f64 v[24:25], v[32:33], s[26:27], -v[20:21]
	v_fma_f64 v[20:21], v[32:33], s[26:27], v[20:21]
	s_delay_alu instid0(VALU_DEP_3) | instskip(NEXT) | instid1(VALU_DEP_3)
	v_fma_f64 v[40:41], v[34:35], s[26:27], v[36:37]
	v_add_f64 v[24:25], v[24:25], v[42:43]
	s_delay_alu instid0(VALU_DEP_3) | instskip(SKIP_4) | instid1(VALU_DEP_4)
	v_add_f64 v[20:21], v[20:21], v[28:29]
	v_fma_f64 v[28:29], v[34:35], s[26:27], -v[36:37]
	v_mul_f64 v[36:37], v[18:19], s[34:35]
	v_mul_f64 v[42:43], v[22:23], s[34:35]
	v_add_f64 v[40:41], v[40:41], v[54:55]
	v_add_f64 v[28:29], v[28:29], v[38:39]
	s_delay_alu instid0(VALU_DEP_4) | instskip(SKIP_1) | instid1(VALU_DEP_2)
	v_fma_f64 v[38:39], v[32:33], s[14:15], -v[36:37]
	v_fma_f64 v[36:37], v[32:33], s[14:15], v[36:37]
	v_add_f64 v[38:39], v[38:39], v[46:47]
	v_fma_f64 v[46:47], v[34:35], s[14:15], v[42:43]
	s_delay_alu instid0(VALU_DEP_3) | instskip(SKIP_2) | instid1(VALU_DEP_4)
	v_add_f64 v[36:37], v[36:37], v[44:45]
	v_fma_f64 v[42:43], v[34:35], s[14:15], -v[42:43]
	v_mul_f64 v[44:45], v[18:19], s[30:31]
	v_add_f64 v[46:47], v[46:47], v[224:225]
	s_delay_alu instid0(VALU_DEP_3) | instskip(NEXT) | instid1(VALU_DEP_3)
	v_add_f64 v[42:43], v[42:43], v[56:57]
	v_fma_f64 v[54:55], v[32:33], s[28:29], -v[44:45]
	v_mul_f64 v[56:57], v[22:23], s[30:31]
	v_fma_f64 v[44:45], v[32:33], s[28:29], v[44:45]
	s_delay_alu instid0(VALU_DEP_3) | instskip(NEXT) | instid1(VALU_DEP_3)
	v_add_f64 v[54:55], v[54:55], v[62:63]
	v_fma_f64 v[62:63], v[34:35], s[28:29], v[56:57]
	s_delay_alu instid0(VALU_DEP_3) | instskip(SKIP_2) | instid1(VALU_DEP_4)
	v_add_f64 v[44:45], v[44:45], v[58:59]
	v_fma_f64 v[56:57], v[34:35], s[28:29], -v[56:57]
	v_mul_f64 v[58:59], v[18:19], s[38:39]
	v_add_f64 v[62:63], v[62:63], v[66:67]
	v_mul_f64 v[66:67], v[22:23], s[38:39]
	s_delay_alu instid0(VALU_DEP_4) | instskip(NEXT) | instid1(VALU_DEP_4)
	v_add_f64 v[56:57], v[56:57], v[60:61]
	v_fma_f64 v[60:61], v[32:33], s[40:41], -v[58:59]
	v_fma_f64 v[58:59], v[32:33], s[40:41], v[58:59]
	s_delay_alu instid0(VALU_DEP_2) | instskip(NEXT) | instid1(VALU_DEP_2)
	v_add_f64 v[60:61], v[60:61], v[82:83]
	v_add_f64 v[4:5], v[58:59], v[4:5]
	v_fma_f64 v[58:59], v[34:35], s[40:41], -v[66:67]
	v_fma_f64 v[82:83], v[34:35], s[40:41], v[66:67]
	s_delay_alu instid0(VALU_DEP_2) | instskip(SKIP_1) | instid1(VALU_DEP_3)
	v_add_f64 v[58:59], v[58:59], v[64:65]
	v_mul_f64 v[64:65], v[18:19], s[52:53]
	v_add_f64 v[82:83], v[82:83], v[204:205]
	v_mul_f64 v[204:205], v[22:23], s[52:53]
	s_delay_alu instid0(VALU_DEP_3) | instskip(SKIP_1) | instid1(VALU_DEP_2)
	v_fma_f64 v[66:67], v[32:33], s[8:9], -v[64:65]
	v_fma_f64 v[64:65], v[32:33], s[8:9], v[64:65]
	v_add_f64 v[66:67], v[66:67], v[208:209]
	s_delay_alu instid0(VALU_DEP_4) | instskip(NEXT) | instid1(VALU_DEP_3)
	v_fma_f64 v[208:209], v[34:35], s[8:9], v[204:205]
	v_add_f64 v[64:65], v[64:65], v[206:207]
	v_fma_f64 v[204:205], v[34:35], s[8:9], -v[204:205]
	v_mul_f64 v[206:207], v[18:19], s[22:23]
	s_delay_alu instid0(VALU_DEP_4) | instskip(SKIP_1) | instid1(VALU_DEP_4)
	v_add_f64 v[208:209], v[208:209], v[212:213]
	v_mul_f64 v[212:213], v[22:23], s[22:23]
	v_add_f64 v[204:205], v[204:205], v[210:211]
	s_delay_alu instid0(VALU_DEP_4) | instskip(SKIP_1) | instid1(VALU_DEP_2)
	v_fma_f64 v[210:211], v[32:33], s[20:21], -v[206:207]
	v_fma_f64 v[206:207], v[32:33], s[20:21], v[206:207]
	v_add_f64 v[210:211], v[210:211], v[216:217]
	v_fma_f64 v[216:217], v[34:35], s[20:21], v[212:213]
	s_delay_alu instid0(VALU_DEP_3) | instskip(SKIP_4) | instid1(VALU_DEP_4)
	v_add_f64 v[70:71], v[206:207], v[70:71]
	v_fma_f64 v[206:207], v[34:35], s[20:21], -v[212:213]
	v_mul_f64 v[212:213], v[18:19], s[42:43]
	v_mul_f64 v[18:19], v[18:19], s[36:37]
	v_add_f64 v[68:69], v[216:217], v[68:69]
	v_add_f64 v[206:207], v[206:207], v[214:215]
	s_delay_alu instid0(VALU_DEP_4) | instskip(SKIP_1) | instid1(VALU_DEP_2)
	v_fma_f64 v[214:215], v[32:33], s[46:47], -v[212:213]
	v_fma_f64 v[212:213], v[32:33], s[46:47], v[212:213]
	v_add_f64 v[72:73], v[214:215], v[72:73]
	v_mul_f64 v[214:215], v[22:23], s[42:43]
	s_delay_alu instid0(VALU_DEP_3) | instskip(SKIP_1) | instid1(VALU_DEP_3)
	v_add_f64 v[78:79], v[212:213], v[78:79]
	v_mul_f64 v[22:23], v[22:23], s[36:37]
	v_fma_f64 v[212:213], v[34:35], s[46:47], -v[214:215]
	v_fma_f64 v[216:217], v[34:35], s[46:47], v[214:215]
	s_delay_alu instid0(VALU_DEP_3) | instskip(NEXT) | instid1(VALU_DEP_3)
	v_fma_f64 v[214:215], v[34:35], s[16:17], v[22:23]
	v_add_f64 v[74:75], v[212:213], v[74:75]
	v_fma_f64 v[212:213], v[32:33], s[16:17], -v[18:19]
	v_fma_f64 v[18:19], v[32:33], s[16:17], v[18:19]
	s_delay_alu instid0(VALU_DEP_4) | instskip(SKIP_1) | instid1(VALU_DEP_4)
	v_add_f64 v[80:81], v[214:215], v[80:81]
	v_add_f64 v[76:77], v[216:217], v[76:77]
	v_add_f64 v[212:213], v[212:213], v[218:219]
	v_add_f64 v[218:219], v[14:15], v[16:17]
	v_add_f64 v[14:15], v[14:15], -v[16:17]
	v_add_f64 v[214:215], v[18:19], v[26:27]
	v_fma_f64 v[18:19], v[34:35], s[16:17], -v[22:23]
	s_delay_alu instid0(VALU_DEP_4) | instskip(SKIP_1) | instid1(VALU_DEP_3)
	v_fma_f64 v[16:17], v[218:219], s[40:41], -v[12:13]
	v_fma_f64 v[12:13], v[218:219], s[40:41], v[12:13]
	v_add_f64 v[216:217], v[18:19], v[30:31]
	s_delay_alu instid0(VALU_DEP_3) | instskip(SKIP_1) | instid1(VALU_DEP_4)
	v_add_f64 v[222:223], v[16:17], v[24:25]
	v_mul_f64 v[16:17], v[14:15], s[38:39]
	v_add_f64 v[228:229], v[12:13], v[20:21]
	s_delay_alu instid0(VALU_DEP_2) | instskip(SKIP_1) | instid1(VALU_DEP_2)
	v_fma_f64 v[12:13], v[220:221], s[40:41], -v[16:17]
	v_fma_f64 v[18:19], v[220:221], s[40:41], v[16:17]
	v_add_f64 v[230:231], v[12:13], v[28:29]
	v_mul_f64 v[12:13], v[10:11], s[36:37]
	s_delay_alu instid0(VALU_DEP_3) | instskip(NEXT) | instid1(VALU_DEP_2)
	v_add_f64 v[226:227], v[18:19], v[40:41]
	v_fma_f64 v[16:17], v[218:219], s[16:17], -v[12:13]
	v_fma_f64 v[12:13], v[218:219], s[16:17], v[12:13]
	s_delay_alu instid0(VALU_DEP_2) | instskip(SKIP_1) | instid1(VALU_DEP_3)
	v_add_f64 v[232:233], v[16:17], v[38:39]
	v_mul_f64 v[16:17], v[14:15], s[36:37]
	v_add_f64 v[236:237], v[12:13], v[36:37]
	s_delay_alu instid0(VALU_DEP_2) | instskip(SKIP_1) | instid1(VALU_DEP_2)
	v_fma_f64 v[12:13], v[220:221], s[16:17], -v[16:17]
	v_fma_f64 v[18:19], v[220:221], s[16:17], v[16:17]
	v_add_f64 v[238:239], v[12:13], v[42:43]
	v_mul_f64 v[12:13], v[10:11], s[10:11]
	s_delay_alu instid0(VALU_DEP_3) | instskip(NEXT) | instid1(VALU_DEP_2)
	v_add_f64 v[234:235], v[18:19], v[46:47]
	v_fma_f64 v[16:17], v[218:219], s[8:9], -v[12:13]
	v_fma_f64 v[12:13], v[218:219], s[8:9], v[12:13]
	s_delay_alu instid0(VALU_DEP_2) | instskip(SKIP_1) | instid1(VALU_DEP_3)
	;; [unrolled: 13-line block ×6, first 2 shown]
	v_add_f64 v[26:27], v[12:13], v[72:73]
	v_mul_f64 v[12:13], v[14:15], s[50:51]
	v_add_f64 v[24:25], v[4:5], v[78:79]
	s_delay_alu instid0(VALU_DEP_2) | instskip(SKIP_1) | instid1(VALU_DEP_2)
	v_fma_f64 v[4:5], v[220:221], s[20:21], -v[12:13]
	v_fma_f64 v[16:17], v[220:221], s[20:21], v[12:13]
	v_add_f64 v[22:23], v[4:5], v[74:75]
	v_mul_f64 v[4:5], v[10:11], s[12:13]
	s_delay_alu instid0(VALU_DEP_3) | instskip(SKIP_2) | instid1(VALU_DEP_4)
	v_add_f64 v[28:29], v[16:17], v[76:77]
	v_add_f64 v[16:17], v[6:7], v[8:9]
	v_add_f64 v[6:7], v[6:7], -v[8:9]
	v_fma_f64 v[10:11], v[218:219], s[14:15], -v[4:5]
	v_fma_f64 v[4:5], v[218:219], s[14:15], v[4:5]
	s_delay_alu instid0(VALU_DEP_2) | instskip(SKIP_1) | instid1(VALU_DEP_3)
	v_add_f64 v[20:21], v[10:11], v[212:213]
	v_mul_f64 v[10:11], v[14:15], s[12:13]
	v_add_f64 v[14:15], v[4:5], v[214:215]
	s_delay_alu instid0(VALU_DEP_2) | instskip(SKIP_1) | instid1(VALU_DEP_2)
	v_fma_f64 v[12:13], v[220:221], s[14:15], v[10:11]
	v_fma_f64 v[4:5], v[220:221], s[14:15], -v[10:11]
	v_add_f64 v[18:19], v[12:13], v[80:81]
	v_add_f64 v[12:13], v[0:1], v[2:3]
	v_add_f64 v[0:1], v[0:1], -v[2:3]
	s_delay_alu instid0(VALU_DEP_4) | instskip(NEXT) | instid1(VALU_DEP_2)
	v_add_f64 v[10:11], v[4:5], v[216:217]
	v_mul_f64 v[2:3], v[0:1], s[42:43]
	s_delay_alu instid0(VALU_DEP_1) | instskip(SKIP_1) | instid1(VALU_DEP_2)
	v_fma_f64 v[4:5], v[16:17], s[46:47], -v[2:3]
	v_fma_f64 v[2:3], v[16:17], s[46:47], v[2:3]
	v_add_f64 v[224:225], v[4:5], v[222:223]
	v_mul_f64 v[4:5], v[6:7], s[42:43]
	s_delay_alu instid0(VALU_DEP_3) | instskip(NEXT) | instid1(VALU_DEP_2)
	v_add_f64 v[228:229], v[2:3], v[228:229]
	v_fma_f64 v[2:3], v[12:13], s[46:47], -v[4:5]
	v_fma_f64 v[8:9], v[12:13], s[46:47], v[4:5]
	s_delay_alu instid0(VALU_DEP_2) | instskip(SKIP_1) | instid1(VALU_DEP_3)
	v_add_f64 v[230:231], v[2:3], v[230:231]
	v_mul_f64 v[2:3], v[0:1], s[48:49]
	v_add_f64 v[226:227], v[8:9], v[226:227]
	s_delay_alu instid0(VALU_DEP_2) | instskip(SKIP_1) | instid1(VALU_DEP_2)
	v_fma_f64 v[4:5], v[16:17], s[28:29], -v[2:3]
	v_fma_f64 v[2:3], v[16:17], s[28:29], v[2:3]
	v_add_f64 v[232:233], v[4:5], v[232:233]
	v_mul_f64 v[4:5], v[6:7], s[48:49]
	s_delay_alu instid0(VALU_DEP_3) | instskip(NEXT) | instid1(VALU_DEP_2)
	v_add_f64 v[236:237], v[2:3], v[236:237]
	v_fma_f64 v[2:3], v[12:13], s[28:29], -v[4:5]
	v_fma_f64 v[8:9], v[12:13], s[28:29], v[4:5]
	s_delay_alu instid0(VALU_DEP_2) | instskip(SKIP_1) | instid1(VALU_DEP_3)
	v_add_f64 v[238:239], v[2:3], v[238:239]
	v_mul_f64 v[2:3], v[0:1], s[38:39]
	v_add_f64 v[234:235], v[8:9], v[234:235]
	s_delay_alu instid0(VALU_DEP_2) | instskip(SKIP_1) | instid1(VALU_DEP_2)
	;; [unrolled: 13-line block ×6, first 2 shown]
	v_fma_f64 v[4:5], v[16:17], s[14:15], -v[2:3]
	v_fma_f64 v[2:3], v[16:17], s[14:15], v[2:3]
	v_add_f64 v[26:27], v[4:5], v[26:27]
	v_mul_f64 v[4:5], v[6:7], s[12:13]
	s_delay_alu instid0(VALU_DEP_3) | instskip(NEXT) | instid1(VALU_DEP_2)
	v_add_f64 v[30:31], v[2:3], v[24:25]
	v_fma_f64 v[8:9], v[12:13], s[14:15], v[4:5]
	v_fma_f64 v[2:3], v[12:13], s[14:15], -v[4:5]
	v_mul_f64 v[4:5], v[0:1], s[52:53]
	s_delay_alu instid0(VALU_DEP_3) | instskip(SKIP_1) | instid1(VALU_DEP_3)
	v_add_f64 v[28:29], v[8:9], v[28:29]
	v_mul_f64 v[8:9], v[6:7], s[52:53]
	v_fma_f64 v[0:1], v[16:17], s[8:9], -v[4:5]
	v_fma_f64 v[4:5], v[16:17], s[8:9], v[4:5]
	v_add_f64 v[32:33], v[2:3], v[22:23]
	s_delay_alu instid0(VALU_DEP_4) | instskip(NEXT) | instid1(VALU_DEP_4)
	v_fma_f64 v[2:3], v[12:13], s[8:9], v[8:9]
	v_add_f64 v[0:1], v[0:1], v[20:21]
	s_delay_alu instid0(VALU_DEP_4) | instskip(SKIP_1) | instid1(VALU_DEP_4)
	v_add_f64 v[6:7], v[4:5], v[14:15]
	v_fma_f64 v[4:5], v[12:13], s[8:9], -v[8:9]
	v_add_f64 v[2:3], v[2:3], v[18:19]
	s_delay_alu instid0(VALU_DEP_2)
	v_add_f64 v[8:9], v[4:5], v[10:11]
	scratch_load_b128 v[10:13], off, off offset:364 ; 16-byte Folded Reload
	s_waitcnt vmcnt(0)
	ds_store_b128 v48, v[10:13]
	ds_store_b128 v48, v[224:227] offset:1904
	ds_store_b128 v48, v[232:235] offset:3808
	;; [unrolled: 1-line block ×16, first 2 shown]
	s_waitcnt lgkmcnt(0)
	s_waitcnt_vscnt null, 0x0
	s_barrier
	buffer_gl0_inv
	scratch_load_b64 v[4:5], off, off offset:356 ; 8-byte Folded Reload
	ds_load_b128 v[0:3], v48
	v_add_co_u32 v12, s0, 0x7e70, v50
	s_delay_alu instid0(VALU_DEP_1) | instskip(SKIP_4) | instid1(VALU_DEP_1)
	v_add_co_ci_u32_e64 v13, s0, 0, v51, s0
	s_waitcnt vmcnt(0)
	global_load_b128 v[4:7], v[4:5], off offset:3696
	s_waitcnt vmcnt(0) lgkmcnt(0)
	v_mul_f64 v[8:9], v[2:3], v[6:7]
	v_fma_f64 v[8:9], v[0:1], v[4:5], -v[8:9]
	v_mul_f64 v[0:1], v[0:1], v[6:7]
	s_delay_alu instid0(VALU_DEP_1)
	v_fma_f64 v[10:11], v[2:3], v[4:5], v[0:1]
	global_load_b128 v[4:7], v[12:13], off offset:1904
	ds_load_b128 v[0:3], v48 offset:1904
	ds_store_b128 v48, v[8:11]
	s_waitcnt vmcnt(0) lgkmcnt(1)
	v_mul_f64 v[8:9], v[2:3], v[6:7]
	s_delay_alu instid0(VALU_DEP_1) | instskip(SKIP_1) | instid1(VALU_DEP_1)
	v_fma_f64 v[8:9], v[0:1], v[4:5], -v[8:9]
	v_mul_f64 v[0:1], v[0:1], v[6:7]
	v_fma_f64 v[10:11], v[2:3], v[4:5], v[0:1]
	global_load_b128 v[4:7], v[12:13], off offset:3808
	ds_load_b128 v[0:3], v48 offset:3808
	v_add_co_u32 v12, s0, 0x9000, v50
	s_delay_alu instid0(VALU_DEP_1) | instskip(SKIP_3) | instid1(VALU_DEP_1)
	v_add_co_ci_u32_e64 v13, s0, 0, v51, s0
	ds_store_b128 v48, v[8:11] offset:1904
	s_waitcnt vmcnt(0) lgkmcnt(1)
	v_mul_f64 v[8:9], v[2:3], v[6:7]
	v_fma_f64 v[8:9], v[0:1], v[4:5], -v[8:9]
	v_mul_f64 v[0:1], v[0:1], v[6:7]
	s_delay_alu instid0(VALU_DEP_1)
	v_fma_f64 v[10:11], v[2:3], v[4:5], v[0:1]
	global_load_b128 v[4:7], v[12:13], off offset:1216
	ds_load_b128 v[0:3], v48 offset:5712
	ds_store_b128 v48, v[8:11] offset:3808
	s_waitcnt vmcnt(0) lgkmcnt(1)
	v_mul_f64 v[8:9], v[2:3], v[6:7]
	s_delay_alu instid0(VALU_DEP_1) | instskip(SKIP_1) | instid1(VALU_DEP_1)
	v_fma_f64 v[8:9], v[0:1], v[4:5], -v[8:9]
	v_mul_f64 v[0:1], v[0:1], v[6:7]
	v_fma_f64 v[10:11], v[2:3], v[4:5], v[0:1]
	global_load_b128 v[4:7], v[12:13], off offset:3120
	ds_load_b128 v[0:3], v48 offset:7616
	v_add_co_u32 v12, s0, 0xa000, v50
	s_delay_alu instid0(VALU_DEP_1) | instskip(SKIP_3) | instid1(VALU_DEP_1)
	v_add_co_ci_u32_e64 v13, s0, 0, v51, s0
	ds_store_b128 v48, v[8:11] offset:5712
	s_waitcnt vmcnt(0) lgkmcnt(1)
	v_mul_f64 v[8:9], v[2:3], v[6:7]
	v_fma_f64 v[8:9], v[0:1], v[4:5], -v[8:9]
	v_mul_f64 v[0:1], v[0:1], v[6:7]
	s_delay_alu instid0(VALU_DEP_1)
	v_fma_f64 v[10:11], v[2:3], v[4:5], v[0:1]
	global_load_b128 v[4:7], v[12:13], off offset:928
	ds_load_b128 v[0:3], v48 offset:9520
	ds_store_b128 v48, v[8:11] offset:7616
	;; [unrolled: 21-line block ×5, first 2 shown]
	s_waitcnt vmcnt(0) lgkmcnt(1)
	v_mul_f64 v[8:9], v[2:3], v[6:7]
	s_delay_alu instid0(VALU_DEP_1) | instskip(SKIP_1) | instid1(VALU_DEP_1)
	v_fma_f64 v[8:9], v[0:1], v[4:5], -v[8:9]
	v_mul_f64 v[0:1], v[0:1], v[6:7]
	v_fma_f64 v[10:11], v[2:3], v[4:5], v[0:1]
	global_load_b128 v[4:7], v[12:13], off offset:1968
	ds_load_b128 v[0:3], v48 offset:22848
	ds_store_b128 v48, v[8:11] offset:20944
	s_waitcnt vmcnt(0) lgkmcnt(1)
	v_mul_f64 v[8:9], v[2:3], v[6:7]
	s_delay_alu instid0(VALU_DEP_1) | instskip(SKIP_1) | instid1(VALU_DEP_1)
	v_fma_f64 v[8:9], v[0:1], v[4:5], -v[8:9]
	v_mul_f64 v[0:1], v[0:1], v[6:7]
	v_fma_f64 v[10:11], v[2:3], v[4:5], v[0:1]
	global_load_b128 v[4:7], v[12:13], off offset:3872
	ds_load_b128 v[0:3], v48 offset:24752
	v_add_co_u32 v12, s0, 0xe000, v50
	s_delay_alu instid0(VALU_DEP_1) | instskip(SKIP_3) | instid1(VALU_DEP_1)
	v_add_co_ci_u32_e64 v13, s0, 0, v51, s0
	ds_store_b128 v48, v[8:11] offset:22848
	s_waitcnt vmcnt(0) lgkmcnt(1)
	v_mul_f64 v[8:9], v[2:3], v[6:7]
	v_fma_f64 v[8:9], v[0:1], v[4:5], -v[8:9]
	v_mul_f64 v[0:1], v[0:1], v[6:7]
	s_delay_alu instid0(VALU_DEP_1)
	v_fma_f64 v[10:11], v[2:3], v[4:5], v[0:1]
	global_load_b128 v[4:7], v[12:13], off offset:1680
	ds_load_b128 v[0:3], v48 offset:26656
	ds_store_b128 v48, v[8:11] offset:24752
	s_waitcnt vmcnt(0) lgkmcnt(1)
	v_mul_f64 v[8:9], v[2:3], v[6:7]
	s_delay_alu instid0(VALU_DEP_1) | instskip(SKIP_1) | instid1(VALU_DEP_1)
	v_fma_f64 v[8:9], v[0:1], v[4:5], -v[8:9]
	v_mul_f64 v[0:1], v[0:1], v[6:7]
	v_fma_f64 v[10:11], v[2:3], v[4:5], v[0:1]
	global_load_b128 v[4:7], v[12:13], off offset:3584
	ds_load_b128 v[0:3], v48 offset:28560
	ds_store_b128 v48, v[8:11] offset:26656
	s_waitcnt vmcnt(0) lgkmcnt(1)
	v_mul_f64 v[8:9], v[2:3], v[6:7]
	s_delay_alu instid0(VALU_DEP_1) | instskip(SKIP_1) | instid1(VALU_DEP_1)
	v_fma_f64 v[8:9], v[0:1], v[4:5], -v[8:9]
	v_mul_f64 v[0:1], v[0:1], v[6:7]
	v_fma_f64 v[10:11], v[2:3], v[4:5], v[0:1]
	v_add_co_u32 v4, s0, 0xf000, v50
	s_delay_alu instid0(VALU_DEP_1)
	v_add_co_ci_u32_e64 v5, s0, 0, v51, s0
	ds_load_b128 v[0:3], v48 offset:30464
	global_load_b128 v[4:7], v[4:5], off offset:1392
	ds_store_b128 v48, v[8:11] offset:28560
	s_waitcnt vmcnt(0) lgkmcnt(1)
	v_mul_f64 v[8:9], v[2:3], v[6:7]
	s_delay_alu instid0(VALU_DEP_1) | instskip(SKIP_1) | instid1(VALU_DEP_1)
	v_fma_f64 v[8:9], v[0:1], v[4:5], -v[8:9]
	v_mul_f64 v[0:1], v[0:1], v[6:7]
	v_fma_f64 v[10:11], v[2:3], v[4:5], v[0:1]
	ds_store_b128 v48, v[8:11] offset:30464
	s_waitcnt lgkmcnt(0)
	s_barrier
	buffer_gl0_inv
	ds_load_b128 v[0:3], v48
	ds_load_b128 v[4:7], v48 offset:1904
	ds_load_b128 v[8:11], v48 offset:3808
	;; [unrolled: 1-line block ×16, first 2 shown]
	s_waitcnt lgkmcnt(0)
	s_barrier
	buffer_gl0_inv
	v_add_f64 v[38:39], v[2:3], v[6:7]
	v_add_f64 v[36:37], v[0:1], v[4:5]
	s_delay_alu instid0(VALU_DEP_2) | instskip(NEXT) | instid1(VALU_DEP_2)
	v_add_f64 v[38:39], v[38:39], v[10:11]
	v_add_f64 v[36:37], v[36:37], v[8:9]
	s_delay_alu instid0(VALU_DEP_2) | instskip(NEXT) | instid1(VALU_DEP_2)
	;; [unrolled: 3-line block ×14, first 2 shown]
	v_add_f64 v[38:39], v[38:39], v[30:31]
	v_add_f64 v[36:37], v[36:37], v[28:29]
	s_delay_alu instid0(VALU_DEP_2) | instskip(SKIP_2) | instid1(VALU_DEP_4)
	v_add_f64 v[222:223], v[38:39], v[34:35]
	v_add_f64 v[38:39], v[6:7], v[34:35]
	v_add_f64 v[6:7], v[6:7], -v[34:35]
	v_add_f64 v[220:221], v[36:37], v[32:33]
	v_add_f64 v[36:37], v[4:5], v[32:33]
	v_add_f64 v[4:5], v[4:5], -v[32:33]
	v_mul_f64 v[40:41], v[38:39], s[28:29]
	v_mul_f64 v[32:33], v[6:7], s[30:31]
	;; [unrolled: 1-line block ×16, first 2 shown]
	v_fma_f64 v[42:43], v[4:5], s[48:49], v[40:41]
	v_fma_f64 v[34:35], v[36:37], s[28:29], v[32:33]
	v_fma_f64 v[32:33], v[36:37], s[28:29], -v[32:33]
	v_fma_f64 v[46:47], v[36:37], s[20:21], v[44:45]
	v_fma_f64 v[44:45], v[36:37], s[20:21], -v[44:45]
	;; [unrolled: 2-line block ×8, first 2 shown]
	v_fma_f64 v[40:41], v[4:5], s[30:31], v[40:41]
	v_fma_f64 v[54:55], v[4:5], s[50:51], v[50:51]
	v_fma_f64 v[50:51], v[4:5], s[22:23], v[50:51]
	v_fma_f64 v[62:63], v[4:5], s[36:37], v[60:61]
	v_fma_f64 v[60:61], v[4:5], s[18:19], v[60:61]
	v_fma_f64 v[70:71], v[4:5], s[52:53], v[68:69]
	v_fma_f64 v[68:69], v[4:5], s[10:11], v[68:69]
	v_fma_f64 v[78:79], v[4:5], s[34:35], v[76:77]
	v_fma_f64 v[76:77], v[4:5], s[12:13], v[76:77]
	v_fma_f64 v[206:207], v[4:5], s[56:57], v[204:205]
	v_fma_f64 v[204:205], v[4:5], s[24:25], v[204:205]
	v_fma_f64 v[214:215], v[4:5], s[44:45], v[212:213]
	v_fma_f64 v[212:213], v[4:5], s[38:39], v[212:213]
	v_fma_f64 v[218:219], v[4:5], s[54:55], v[38:39]
	v_fma_f64 v[4:5], v[4:5], s[42:43], v[38:39]
	v_add_f64 v[42:43], v[2:3], v[42:43]
	v_add_f64 v[34:35], v[0:1], v[34:35]
	;; [unrolled: 1-line block ×18, first 2 shown]
	v_add_f64 v[10:11], v[10:11], -v[30:31]
	v_add_f64 v[40:41], v[2:3], v[40:41]
	v_add_f64 v[54:55], v[2:3], v[54:55]
	;; [unrolled: 1-line block ×16, first 2 shown]
	v_add_f64 v[8:9], v[8:9], -v[28:29]
	v_mul_f64 v[28:29], v[10:11], s[22:23]
	s_delay_alu instid0(VALU_DEP_1) | instskip(SKIP_1) | instid1(VALU_DEP_2)
	v_fma_f64 v[30:31], v[4:5], s[20:21], v[28:29]
	v_fma_f64 v[28:29], v[4:5], s[20:21], -v[28:29]
	v_add_f64 v[30:31], v[30:31], v[34:35]
	v_mul_f64 v[34:35], v[6:7], s[20:21]
	s_delay_alu instid0(VALU_DEP_3) | instskip(NEXT) | instid1(VALU_DEP_2)
	v_add_f64 v[28:29], v[28:29], v[32:33]
	v_fma_f64 v[36:37], v[8:9], s[50:51], v[34:35]
	v_fma_f64 v[32:33], v[8:9], s[22:23], v[34:35]
	v_mul_f64 v[34:35], v[10:11], s[10:11]
	s_delay_alu instid0(VALU_DEP_3) | instskip(NEXT) | instid1(VALU_DEP_3)
	v_add_f64 v[36:37], v[36:37], v[42:43]
	v_add_f64 v[32:33], v[32:33], v[40:41]
	s_delay_alu instid0(VALU_DEP_3) | instskip(SKIP_2) | instid1(VALU_DEP_3)
	v_fma_f64 v[38:39], v[4:5], s[8:9], v[34:35]
	v_fma_f64 v[34:35], v[4:5], s[8:9], -v[34:35]
	v_mul_f64 v[40:41], v[6:7], s[8:9]
	v_add_f64 v[38:39], v[38:39], v[46:47]
	s_delay_alu instid0(VALU_DEP_3) | instskip(SKIP_1) | instid1(VALU_DEP_4)
	v_add_f64 v[34:35], v[34:35], v[44:45]
	v_mul_f64 v[44:45], v[10:11], s[24:25]
	v_fma_f64 v[42:43], v[8:9], s[52:53], v[40:41]
	v_fma_f64 v[40:41], v[8:9], s[10:11], v[40:41]
	s_delay_alu instid0(VALU_DEP_3) | instskip(SKIP_1) | instid1(VALU_DEP_3)
	v_fma_f64 v[46:47], v[4:5], s[26:27], v[44:45]
	v_fma_f64 v[44:45], v[4:5], s[26:27], -v[44:45]
	v_add_f64 v[40:41], v[40:41], v[50:51]
	v_mul_f64 v[50:51], v[6:7], s[26:27]
	v_add_f64 v[42:43], v[42:43], v[54:55]
	v_add_f64 v[46:47], v[46:47], v[58:59]
	v_add_f64 v[44:45], v[44:45], v[56:57]
	v_mul_f64 v[56:57], v[10:11], s[42:43]
	v_fma_f64 v[54:55], v[8:9], s[56:57], v[50:51]
	v_fma_f64 v[50:51], v[8:9], s[24:25], v[50:51]
	s_delay_alu instid0(VALU_DEP_3) | instskip(SKIP_1) | instid1(VALU_DEP_3)
	v_fma_f64 v[58:59], v[4:5], s[46:47], v[56:57]
	v_fma_f64 v[56:57], v[4:5], s[46:47], -v[56:57]
	v_add_f64 v[50:51], v[50:51], v[60:61]
	v_mul_f64 v[60:61], v[6:7], s[46:47]
	v_add_f64 v[54:55], v[54:55], v[62:63]
	v_add_f64 v[58:59], v[58:59], v[66:67]
	;; [unrolled: 11-line block ×4, first 2 shown]
	v_add_f64 v[72:73], v[72:73], v[80:81]
	v_mul_f64 v[80:81], v[10:11], s[36:37]
	v_fma_f64 v[78:79], v[8:9], s[12:13], v[76:77]
	v_fma_f64 v[76:77], v[8:9], s[34:35], v[76:77]
	v_mul_f64 v[10:11], v[10:11], s[48:49]
	s_delay_alu instid0(VALU_DEP_4) | instskip(SKIP_1) | instid1(VALU_DEP_4)
	v_fma_f64 v[82:83], v[4:5], s[16:17], v[80:81]
	v_fma_f64 v[80:81], v[4:5], s[16:17], -v[80:81]
	v_add_f64 v[76:77], v[76:77], v[204:205]
	v_mul_f64 v[204:205], v[6:7], s[16:17]
	v_mul_f64 v[6:7], v[6:7], s[28:29]
	v_add_f64 v[78:79], v[78:79], v[206:207]
	v_add_f64 v[82:83], v[82:83], v[210:211]
	v_add_f64 v[80:81], v[80:81], v[208:209]
	v_fma_f64 v[208:209], v[4:5], s[28:29], v[10:11]
	v_fma_f64 v[4:5], v[4:5], s[28:29], -v[10:11]
	v_add_f64 v[10:11], v[14:15], -v[26:27]
	v_fma_f64 v[206:207], v[8:9], s[18:19], v[204:205]
	v_fma_f64 v[204:205], v[8:9], s[36:37], v[204:205]
	;; [unrolled: 1-line block ×3, first 2 shown]
	v_add_f64 v[208:209], v[208:209], v[216:217]
	v_add_f64 v[0:1], v[4:5], v[0:1]
	v_fma_f64 v[4:5], v[8:9], s[48:49], v[6:7]
	v_add_f64 v[8:9], v[12:13], -v[24:25]
	v_add_f64 v[6:7], v[14:15], v[26:27]
	v_add_f64 v[204:205], v[204:205], v[212:213]
	;; [unrolled: 1-line block ×6, first 2 shown]
	v_mul_f64 v[12:13], v[10:11], s[18:19]
	v_mul_f64 v[24:25], v[6:7], s[16:17]
	s_delay_alu instid0(VALU_DEP_2) | instskip(SKIP_1) | instid1(VALU_DEP_3)
	v_fma_f64 v[14:15], v[4:5], s[16:17], v[12:13]
	v_fma_f64 v[12:13], v[4:5], s[16:17], -v[12:13]
	v_fma_f64 v[26:27], v[8:9], s[36:37], v[24:25]
	v_fma_f64 v[24:25], v[8:9], s[18:19], v[24:25]
	s_delay_alu instid0(VALU_DEP_4) | instskip(NEXT) | instid1(VALU_DEP_4)
	v_add_f64 v[14:15], v[14:15], v[30:31]
	v_add_f64 v[12:13], v[12:13], v[28:29]
	v_mul_f64 v[28:29], v[10:11], s[24:25]
	s_delay_alu instid0(VALU_DEP_4) | instskip(SKIP_2) | instid1(VALU_DEP_4)
	v_add_f64 v[24:25], v[24:25], v[32:33]
	v_mul_f64 v[32:33], v[6:7], s[26:27]
	v_add_f64 v[26:27], v[26:27], v[36:37]
	v_fma_f64 v[30:31], v[4:5], s[26:27], v[28:29]
	v_fma_f64 v[28:29], v[4:5], s[26:27], -v[28:29]
	s_delay_alu instid0(VALU_DEP_4) | instskip(SKIP_1) | instid1(VALU_DEP_4)
	v_fma_f64 v[36:37], v[8:9], s[56:57], v[32:33]
	v_fma_f64 v[32:33], v[8:9], s[24:25], v[32:33]
	v_add_f64 v[30:31], v[30:31], v[38:39]
	s_delay_alu instid0(VALU_DEP_4) | instskip(SKIP_1) | instid1(VALU_DEP_4)
	v_add_f64 v[28:29], v[28:29], v[34:35]
	v_mul_f64 v[34:35], v[10:11], s[54:55]
	v_add_f64 v[32:33], v[32:33], v[40:41]
	v_mul_f64 v[40:41], v[6:7], s[46:47]
	v_add_f64 v[36:37], v[36:37], v[42:43]
	s_delay_alu instid0(VALU_DEP_4) | instskip(SKIP_1) | instid1(VALU_DEP_4)
	v_fma_f64 v[38:39], v[4:5], s[46:47], v[34:35]
	v_fma_f64 v[34:35], v[4:5], s[46:47], -v[34:35]
	v_fma_f64 v[42:43], v[8:9], s[42:43], v[40:41]
	v_fma_f64 v[40:41], v[8:9], s[54:55], v[40:41]
	s_delay_alu instid0(VALU_DEP_4) | instskip(NEXT) | instid1(VALU_DEP_4)
	v_add_f64 v[38:39], v[38:39], v[46:47]
	v_add_f64 v[34:35], v[34:35], v[44:45]
	v_mul_f64 v[44:45], v[10:11], s[34:35]
	s_delay_alu instid0(VALU_DEP_4) | instskip(SKIP_2) | instid1(VALU_DEP_4)
	v_add_f64 v[40:41], v[40:41], v[50:51]
	v_mul_f64 v[50:51], v[6:7], s[14:15]
	v_add_f64 v[42:43], v[42:43], v[54:55]
	v_fma_f64 v[46:47], v[4:5], s[14:15], v[44:45]
	v_fma_f64 v[44:45], v[4:5], s[14:15], -v[44:45]
	s_delay_alu instid0(VALU_DEP_4) | instskip(SKIP_1) | instid1(VALU_DEP_4)
	v_fma_f64 v[54:55], v[8:9], s[12:13], v[50:51]
	v_fma_f64 v[50:51], v[8:9], s[34:35], v[50:51]
	v_add_f64 v[46:47], v[46:47], v[58:59]
	s_delay_alu instid0(VALU_DEP_4) | instskip(SKIP_1) | instid1(VALU_DEP_4)
	v_add_f64 v[44:45], v[44:45], v[56:57]
	v_mul_f64 v[56:57], v[10:11], s[50:51]
	v_add_f64 v[50:51], v[50:51], v[60:61]
	v_mul_f64 v[60:61], v[6:7], s[20:21]
	v_add_f64 v[54:55], v[54:55], v[62:63]
	s_delay_alu instid0(VALU_DEP_4) | instskip(SKIP_1) | instid1(VALU_DEP_4)
	v_fma_f64 v[58:59], v[4:5], s[20:21], v[56:57]
	v_fma_f64 v[56:57], v[4:5], s[20:21], -v[56:57]
	v_fma_f64 v[62:63], v[8:9], s[22:23], v[60:61]
	v_fma_f64 v[60:61], v[8:9], s[50:51], v[60:61]
	s_delay_alu instid0(VALU_DEP_4) | instskip(NEXT) | instid1(VALU_DEP_4)
	v_add_f64 v[58:59], v[58:59], v[66:67]
	v_add_f64 v[56:57], v[56:57], v[64:65]
	v_mul_f64 v[64:65], v[10:11], s[30:31]
	s_delay_alu instid0(VALU_DEP_4) | instskip(SKIP_2) | instid1(VALU_DEP_4)
	v_add_f64 v[60:61], v[60:61], v[68:69]
	v_mul_f64 v[68:69], v[6:7], s[28:29]
	v_add_f64 v[62:63], v[62:63], v[70:71]
	v_fma_f64 v[66:67], v[4:5], s[28:29], v[64:65]
	v_fma_f64 v[64:65], v[4:5], s[28:29], -v[64:65]
	s_delay_alu instid0(VALU_DEP_4) | instskip(SKIP_1) | instid1(VALU_DEP_4)
	v_fma_f64 v[70:71], v[8:9], s[48:49], v[68:69]
	v_fma_f64 v[68:69], v[8:9], s[30:31], v[68:69]
	v_add_f64 v[66:67], v[66:67], v[74:75]
	s_delay_alu instid0(VALU_DEP_4)
	v_add_f64 v[64:65], v[64:65], v[72:73]
	v_mul_f64 v[72:73], v[10:11], s[10:11]
	v_mul_f64 v[10:11], v[10:11], s[38:39]
	v_add_f64 v[68:69], v[68:69], v[76:77]
	v_mul_f64 v[76:77], v[6:7], s[8:9]
	v_mul_f64 v[6:7], v[6:7], s[40:41]
	v_add_f64 v[70:71], v[70:71], v[78:79]
	v_fma_f64 v[74:75], v[4:5], s[8:9], v[72:73]
	v_fma_f64 v[72:73], v[4:5], s[8:9], -v[72:73]
	v_fma_f64 v[78:79], v[8:9], s[52:53], v[76:77]
	v_fma_f64 v[76:77], v[8:9], s[10:11], v[76:77]
	s_delay_alu instid0(VALU_DEP_4) | instskip(NEXT) | instid1(VALU_DEP_4)
	v_add_f64 v[74:75], v[74:75], v[82:83]
	v_add_f64 v[72:73], v[72:73], v[80:81]
	v_fma_f64 v[80:81], v[4:5], s[40:41], v[10:11]
	v_fma_f64 v[4:5], v[4:5], s[40:41], -v[10:11]
	v_add_f64 v[10:11], v[18:19], -v[22:23]
	v_fma_f64 v[82:83], v[8:9], s[44:45], v[6:7]
	v_add_f64 v[76:77], v[76:77], v[204:205]
	v_add_f64 v[78:79], v[78:79], v[206:207]
	v_add_f64 v[204:205], v[234:235], -v[238:239]
	v_add_f64 v[80:81], v[80:81], v[208:209]
	v_add_f64 v[0:1], v[4:5], v[0:1]
	v_fma_f64 v[4:5], v[8:9], s[38:39], v[6:7]
	v_add_f64 v[8:9], v[16:17], -v[20:21]
	v_add_f64 v[6:7], v[18:19], v[22:23]
	v_add_f64 v[82:83], v[82:83], v[210:211]
	s_delay_alu instid0(VALU_DEP_4) | instskip(SKIP_2) | instid1(VALU_DEP_1)
	v_add_f64 v[2:3], v[4:5], v[2:3]
	v_add_f64 v[4:5], v[16:17], v[20:21]
	v_mul_f64 v[16:17], v[10:11], s[10:11]
	v_fma_f64 v[18:19], v[4:5], s[8:9], v[16:17]
	v_fma_f64 v[16:17], v[4:5], s[8:9], -v[16:17]
	s_delay_alu instid0(VALU_DEP_2) | instskip(SKIP_1) | instid1(VALU_DEP_3)
	v_add_f64 v[14:15], v[18:19], v[14:15]
	v_mul_f64 v[18:19], v[6:7], s[8:9]
	v_add_f64 v[12:13], v[16:17], v[12:13]
	s_delay_alu instid0(VALU_DEP_2) | instskip(SKIP_2) | instid1(VALU_DEP_3)
	v_fma_f64 v[20:21], v[8:9], s[52:53], v[18:19]
	v_fma_f64 v[16:17], v[8:9], s[10:11], v[18:19]
	v_mul_f64 v[18:19], v[10:11], s[42:43]
	v_add_f64 v[20:21], v[20:21], v[26:27]
	s_delay_alu instid0(VALU_DEP_3) | instskip(NEXT) | instid1(VALU_DEP_3)
	v_add_f64 v[16:17], v[16:17], v[24:25]
	v_fma_f64 v[22:23], v[4:5], s[46:47], v[18:19]
	v_fma_f64 v[18:19], v[4:5], s[46:47], -v[18:19]
	v_mul_f64 v[24:25], v[6:7], s[46:47]
	s_delay_alu instid0(VALU_DEP_3) | instskip(NEXT) | instid1(VALU_DEP_3)
	v_add_f64 v[22:23], v[22:23], v[30:31]
	v_add_f64 v[18:19], v[18:19], v[28:29]
	v_mul_f64 v[28:29], v[10:11], s[34:35]
	s_delay_alu instid0(VALU_DEP_4) | instskip(SKIP_1) | instid1(VALU_DEP_3)
	v_fma_f64 v[26:27], v[8:9], s[54:55], v[24:25]
	v_fma_f64 v[24:25], v[8:9], s[42:43], v[24:25]
	;; [unrolled: 1-line block ×3, first 2 shown]
	v_fma_f64 v[28:29], v[4:5], s[14:15], -v[28:29]
	s_delay_alu instid0(VALU_DEP_3)
	v_add_f64 v[24:25], v[24:25], v[32:33]
	v_mul_f64 v[32:33], v[6:7], s[14:15]
	v_add_f64 v[26:27], v[26:27], v[36:37]
	v_add_f64 v[30:31], v[30:31], v[38:39]
	v_add_f64 v[28:29], v[28:29], v[34:35]
	v_mul_f64 v[34:35], v[10:11], s[48:49]
	v_fma_f64 v[36:37], v[8:9], s[12:13], v[32:33]
	v_fma_f64 v[32:33], v[8:9], s[34:35], v[32:33]
	s_delay_alu instid0(VALU_DEP_3) | instskip(SKIP_1) | instid1(VALU_DEP_3)
	v_fma_f64 v[38:39], v[4:5], s[28:29], v[34:35]
	v_fma_f64 v[34:35], v[4:5], s[28:29], -v[34:35]
	v_add_f64 v[32:33], v[32:33], v[40:41]
	v_mul_f64 v[40:41], v[6:7], s[28:29]
	v_add_f64 v[36:37], v[36:37], v[42:43]
	v_add_f64 v[38:39], v[38:39], v[46:47]
	v_add_f64 v[34:35], v[34:35], v[44:45]
	v_mul_f64 v[44:45], v[10:11], s[18:19]
	v_fma_f64 v[42:43], v[8:9], s[30:31], v[40:41]
	v_fma_f64 v[40:41], v[8:9], s[48:49], v[40:41]
	s_delay_alu instid0(VALU_DEP_3) | instskip(SKIP_1) | instid1(VALU_DEP_3)
	v_fma_f64 v[46:47], v[4:5], s[16:17], v[44:45]
	v_fma_f64 v[44:45], v[4:5], s[16:17], -v[44:45]
	;; [unrolled: 11-line block ×3, first 2 shown]
	v_add_f64 v[50:51], v[50:51], v[60:61]
	v_mul_f64 v[60:61], v[6:7], s[40:41]
	v_add_f64 v[54:55], v[54:55], v[62:63]
	v_add_f64 v[58:59], v[58:59], v[66:67]
	;; [unrolled: 1-line block ×3, first 2 shown]
	v_mul_f64 v[64:65], v[10:11], s[56:57]
	v_fma_f64 v[62:63], v[8:9], s[44:45], v[60:61]
	v_fma_f64 v[60:61], v[8:9], s[38:39], v[60:61]
	v_mul_f64 v[10:11], v[10:11], s[50:51]
	s_delay_alu instid0(VALU_DEP_4) | instskip(SKIP_1) | instid1(VALU_DEP_4)
	v_fma_f64 v[66:67], v[4:5], s[26:27], v[64:65]
	v_fma_f64 v[64:65], v[4:5], s[26:27], -v[64:65]
	v_add_f64 v[60:61], v[60:61], v[68:69]
	v_mul_f64 v[68:69], v[6:7], s[26:27]
	v_mul_f64 v[6:7], v[6:7], s[20:21]
	v_add_f64 v[62:63], v[62:63], v[70:71]
	v_add_f64 v[66:67], v[66:67], v[74:75]
	v_add_f64 v[64:65], v[64:65], v[72:73]
	v_fma_f64 v[72:73], v[4:5], s[20:21], v[10:11]
	v_fma_f64 v[4:5], v[4:5], s[20:21], -v[10:11]
	v_fma_f64 v[70:71], v[8:9], s[24:25], v[68:69]
	v_fma_f64 v[68:69], v[8:9], s[56:57], v[68:69]
	v_add_f64 v[10:11], v[250:251], -v[254:255]
	v_fma_f64 v[74:75], v[8:9], s[22:23], v[6:7]
	v_add_f64 v[72:73], v[72:73], v[80:81]
	v_add_f64 v[0:1], v[4:5], v[0:1]
	v_fma_f64 v[4:5], v[8:9], s[50:51], v[6:7]
	v_add_f64 v[68:69], v[68:69], v[76:77]
	v_mul_f64 v[76:77], v[10:11], s[12:13]
	v_add_f64 v[70:71], v[70:71], v[78:79]
	v_add_f64 v[6:7], v[250:251], v[254:255]
	v_add_f64 v[8:9], v[248:249], -v[252:253]
	v_add_f64 v[74:75], v[74:75], v[82:83]
	v_add_f64 v[82:83], v[232:233], -v[236:237]
	v_add_f64 v[2:3], v[4:5], v[2:3]
	v_add_f64 v[4:5], v[248:249], v[252:253]
	s_delay_alu instid0(VALU_DEP_1) | instskip(SKIP_1) | instid1(VALU_DEP_2)
	v_fma_f64 v[78:79], v[4:5], s[14:15], v[76:77]
	v_fma_f64 v[76:77], v[4:5], s[14:15], -v[76:77]
	v_add_f64 v[14:15], v[78:79], v[14:15]
	v_mul_f64 v[78:79], v[6:7], s[14:15]
	s_delay_alu instid0(VALU_DEP_3) | instskip(NEXT) | instid1(VALU_DEP_2)
	v_add_f64 v[12:13], v[76:77], v[12:13]
	v_fma_f64 v[76:77], v[8:9], s[12:13], v[78:79]
	v_fma_f64 v[80:81], v[8:9], s[34:35], v[78:79]
	s_delay_alu instid0(VALU_DEP_2) | instskip(SKIP_1) | instid1(VALU_DEP_3)
	v_add_f64 v[16:17], v[76:77], v[16:17]
	v_mul_f64 v[76:77], v[10:11], s[44:45]
	v_add_f64 v[20:21], v[80:81], v[20:21]
	s_delay_alu instid0(VALU_DEP_2) | instskip(SKIP_1) | instid1(VALU_DEP_2)
	v_fma_f64 v[78:79], v[4:5], s[40:41], v[76:77]
	v_fma_f64 v[76:77], v[4:5], s[40:41], -v[76:77]
	v_add_f64 v[22:23], v[78:79], v[22:23]
	v_mul_f64 v[78:79], v[6:7], s[40:41]
	s_delay_alu instid0(VALU_DEP_3) | instskip(NEXT) | instid1(VALU_DEP_2)
	v_add_f64 v[18:19], v[76:77], v[18:19]
	v_fma_f64 v[76:77], v[8:9], s[44:45], v[78:79]
	v_fma_f64 v[80:81], v[8:9], s[38:39], v[78:79]
	s_delay_alu instid0(VALU_DEP_2) | instskip(SKIP_1) | instid1(VALU_DEP_3)
	v_add_f64 v[24:25], v[76:77], v[24:25]
	v_mul_f64 v[76:77], v[10:11], s[50:51]
	v_add_f64 v[26:27], v[80:81], v[26:27]
	s_delay_alu instid0(VALU_DEP_2) | instskip(SKIP_1) | instid1(VALU_DEP_2)
	;; [unrolled: 13-line block ×5, first 2 shown]
	v_fma_f64 v[78:79], v[4:5], s[8:9], v[76:77]
	v_fma_f64 v[76:77], v[4:5], s[8:9], -v[76:77]
	v_add_f64 v[58:59], v[78:79], v[58:59]
	v_mul_f64 v[78:79], v[6:7], s[8:9]
	s_delay_alu instid0(VALU_DEP_3) | instskip(NEXT) | instid1(VALU_DEP_2)
	v_add_f64 v[56:57], v[76:77], v[56:57]
	v_fma_f64 v[76:77], v[8:9], s[52:53], v[78:79]
	v_fma_f64 v[80:81], v[8:9], s[10:11], v[78:79]
	s_delay_alu instid0(VALU_DEP_2) | instskip(SKIP_2) | instid1(VALU_DEP_4)
	v_add_f64 v[60:61], v[76:77], v[60:61]
	v_mul_f64 v[76:77], v[10:11], s[30:31]
	v_mul_f64 v[10:11], v[10:11], s[24:25]
	v_add_f64 v[62:63], v[80:81], v[62:63]
	s_delay_alu instid0(VALU_DEP_3) | instskip(SKIP_1) | instid1(VALU_DEP_2)
	v_fma_f64 v[78:79], v[4:5], s[28:29], v[76:77]
	v_fma_f64 v[76:77], v[4:5], s[28:29], -v[76:77]
	v_add_f64 v[66:67], v[78:79], v[66:67]
	v_mul_f64 v[78:79], v[6:7], s[28:29]
	s_delay_alu instid0(VALU_DEP_3) | instskip(SKIP_1) | instid1(VALU_DEP_3)
	v_add_f64 v[64:65], v[76:77], v[64:65]
	v_mul_f64 v[6:7], v[6:7], s[26:27]
	v_fma_f64 v[76:77], v[8:9], s[30:31], v[78:79]
	v_fma_f64 v[80:81], v[8:9], s[48:49], v[78:79]
	s_delay_alu instid0(VALU_DEP_2) | instskip(SKIP_4) | instid1(VALU_DEP_4)
	v_add_f64 v[68:69], v[76:77], v[68:69]
	v_fma_f64 v[76:77], v[4:5], s[26:27], v[10:11]
	v_fma_f64 v[4:5], v[4:5], s[26:27], -v[10:11]
	v_add_f64 v[10:11], v[242:243], -v[246:247]
	v_add_f64 v[70:71], v[80:81], v[70:71]
	v_add_f64 v[72:73], v[76:77], v[72:73]
	v_fma_f64 v[76:77], v[8:9], s[56:57], v[6:7]
	v_add_f64 v[0:1], v[4:5], v[0:1]
	v_fma_f64 v[4:5], v[8:9], s[24:25], v[6:7]
	v_add_f64 v[6:7], v[242:243], v[246:247]
	v_add_f64 v[8:9], v[240:241], -v[244:245]
	v_add_f64 v[74:75], v[76:77], v[74:75]
	v_mul_f64 v[76:77], v[10:11], s[24:25]
	v_add_f64 v[2:3], v[4:5], v[2:3]
	v_add_f64 v[4:5], v[240:241], v[244:245]
	s_delay_alu instid0(VALU_DEP_1) | instskip(SKIP_1) | instid1(VALU_DEP_2)
	v_fma_f64 v[78:79], v[4:5], s[26:27], v[76:77]
	v_fma_f64 v[76:77], v[4:5], s[26:27], -v[76:77]
	v_add_f64 v[14:15], v[78:79], v[14:15]
	v_mul_f64 v[78:79], v[6:7], s[26:27]
	s_delay_alu instid0(VALU_DEP_3) | instskip(NEXT) | instid1(VALU_DEP_2)
	v_add_f64 v[12:13], v[76:77], v[12:13]
	v_fma_f64 v[76:77], v[8:9], s[24:25], v[78:79]
	v_fma_f64 v[80:81], v[8:9], s[56:57], v[78:79]
	s_delay_alu instid0(VALU_DEP_2) | instskip(SKIP_1) | instid1(VALU_DEP_3)
	v_add_f64 v[16:17], v[76:77], v[16:17]
	v_mul_f64 v[76:77], v[10:11], s[34:35]
	v_add_f64 v[20:21], v[80:81], v[20:21]
	s_delay_alu instid0(VALU_DEP_2) | instskip(SKIP_1) | instid1(VALU_DEP_2)
	v_fma_f64 v[78:79], v[4:5], s[14:15], v[76:77]
	v_fma_f64 v[76:77], v[4:5], s[14:15], -v[76:77]
	v_add_f64 v[22:23], v[78:79], v[22:23]
	v_mul_f64 v[78:79], v[6:7], s[14:15]
	s_delay_alu instid0(VALU_DEP_3) | instskip(NEXT) | instid1(VALU_DEP_2)
	v_add_f64 v[18:19], v[76:77], v[18:19]
	v_fma_f64 v[76:77], v[8:9], s[34:35], v[78:79]
	v_fma_f64 v[80:81], v[8:9], s[12:13], v[78:79]
	s_delay_alu instid0(VALU_DEP_2) | instskip(SKIP_1) | instid1(VALU_DEP_3)
	v_add_f64 v[24:25], v[76:77], v[24:25]
	v_mul_f64 v[76:77], v[10:11], s[30:31]
	v_add_f64 v[26:27], v[80:81], v[26:27]
	s_delay_alu instid0(VALU_DEP_2) | instskip(SKIP_1) | instid1(VALU_DEP_2)
	;; [unrolled: 13-line block ×5, first 2 shown]
	v_fma_f64 v[78:79], v[4:5], s[20:21], v[76:77]
	v_fma_f64 v[76:77], v[4:5], s[20:21], -v[76:77]
	v_add_f64 v[58:59], v[78:79], v[58:59]
	v_mul_f64 v[78:79], v[6:7], s[20:21]
	s_delay_alu instid0(VALU_DEP_3) | instskip(NEXT) | instid1(VALU_DEP_2)
	v_add_f64 v[56:57], v[76:77], v[56:57]
	v_fma_f64 v[76:77], v[8:9], s[22:23], v[78:79]
	v_fma_f64 v[80:81], v[8:9], s[50:51], v[78:79]
	s_delay_alu instid0(VALU_DEP_2) | instskip(SKIP_2) | instid1(VALU_DEP_4)
	v_add_f64 v[60:61], v[76:77], v[60:61]
	v_mul_f64 v[76:77], v[10:11], s[42:43]
	v_mul_f64 v[10:11], v[10:11], s[36:37]
	v_add_f64 v[62:63], v[80:81], v[62:63]
	s_delay_alu instid0(VALU_DEP_3) | instskip(SKIP_1) | instid1(VALU_DEP_2)
	v_fma_f64 v[78:79], v[4:5], s[46:47], v[76:77]
	v_fma_f64 v[76:77], v[4:5], s[46:47], -v[76:77]
	v_add_f64 v[66:67], v[78:79], v[66:67]
	v_mul_f64 v[78:79], v[6:7], s[46:47]
	s_delay_alu instid0(VALU_DEP_3) | instskip(SKIP_1) | instid1(VALU_DEP_3)
	v_add_f64 v[64:65], v[76:77], v[64:65]
	v_mul_f64 v[6:7], v[6:7], s[16:17]
	v_fma_f64 v[76:77], v[8:9], s[42:43], v[78:79]
	v_fma_f64 v[80:81], v[8:9], s[54:55], v[78:79]
	v_add_f64 v[78:79], v[232:233], v[236:237]
	s_delay_alu instid0(VALU_DEP_3) | instskip(SKIP_4) | instid1(VALU_DEP_4)
	v_add_f64 v[68:69], v[76:77], v[68:69]
	v_fma_f64 v[76:77], v[4:5], s[16:17], v[10:11]
	v_fma_f64 v[4:5], v[4:5], s[16:17], -v[10:11]
	v_add_f64 v[70:71], v[80:81], v[70:71]
	v_add_f64 v[80:81], v[234:235], v[238:239]
	;; [unrolled: 1-line block ×3, first 2 shown]
	v_fma_f64 v[76:77], v[8:9], s[18:19], v[6:7]
	s_delay_alu instid0(VALU_DEP_1) | instskip(SKIP_2) | instid1(VALU_DEP_1)
	v_add_f64 v[74:75], v[76:77], v[74:75]
	v_add_f64 v[76:77], v[4:5], v[0:1]
	v_fma_f64 v[0:1], v[8:9], s[36:37], v[6:7]
	v_add_f64 v[8:9], v[0:1], v[2:3]
	v_mul_f64 v[0:1], v[204:205], s[38:39]
	s_delay_alu instid0(VALU_DEP_1) | instskip(SKIP_1) | instid1(VALU_DEP_2)
	v_fma_f64 v[2:3], v[78:79], s[40:41], v[0:1]
	v_fma_f64 v[0:1], v[78:79], s[40:41], -v[0:1]
	v_add_f64 v[236:237], v[2:3], v[14:15]
	v_mul_f64 v[2:3], v[80:81], s[40:41]
	s_delay_alu instid0(VALU_DEP_3) | instskip(NEXT) | instid1(VALU_DEP_2)
	v_add_f64 v[0:1], v[0:1], v[12:13]
	v_fma_f64 v[4:5], v[82:83], s[44:45], v[2:3]
	v_fma_f64 v[2:3], v[82:83], s[38:39], v[2:3]
	s_delay_alu instid0(VALU_DEP_2) | instskip(SKIP_1) | instid1(VALU_DEP_3)
	v_add_f64 v[238:239], v[4:5], v[20:21]
	v_mul_f64 v[4:5], v[204:205], s[36:37]
	v_add_f64 v[2:3], v[2:3], v[16:17]
	v_mul_f64 v[16:17], v[80:81], s[28:29]
	s_delay_alu instid0(VALU_DEP_3) | instskip(SKIP_1) | instid1(VALU_DEP_2)
	v_fma_f64 v[6:7], v[78:79], s[16:17], v[4:5]
	v_fma_f64 v[4:5], v[78:79], s[16:17], -v[4:5]
	v_add_f64 v[240:241], v[6:7], v[22:23]
	v_mul_f64 v[6:7], v[80:81], s[16:17]
	s_delay_alu instid0(VALU_DEP_3) | instskip(SKIP_1) | instid1(VALU_DEP_3)
	v_add_f64 v[232:233], v[4:5], v[18:19]
	v_mul_f64 v[18:19], v[204:205], s[42:43]
	v_fma_f64 v[4:5], v[82:83], s[36:37], v[6:7]
	v_fma_f64 v[10:11], v[82:83], s[18:19], v[6:7]
	s_delay_alu instid0(VALU_DEP_3) | instskip(SKIP_1) | instid1(VALU_DEP_4)
	v_fma_f64 v[20:21], v[78:79], s[46:47], v[18:19]
	v_fma_f64 v[18:19], v[78:79], s[46:47], -v[18:19]
	v_add_f64 v[234:235], v[4:5], v[24:25]
	v_mul_f64 v[4:5], v[204:205], s[10:11]
	v_add_f64 v[242:243], v[10:11], v[26:27]
	s_delay_alu instid0(VALU_DEP_4) | instskip(NEXT) | instid1(VALU_DEP_3)
	v_add_f64 v[26:27], v[18:19], v[56:57]
	v_fma_f64 v[6:7], v[78:79], s[8:9], v[4:5]
	v_fma_f64 v[4:5], v[78:79], s[8:9], -v[4:5]
	s_delay_alu instid0(VALU_DEP_2) | instskip(SKIP_1) | instid1(VALU_DEP_3)
	v_add_f64 v[244:245], v[6:7], v[30:31]
	v_mul_f64 v[6:7], v[80:81], s[8:9]
	v_add_f64 v[4:5], v[4:5], v[28:29]
	v_add_f64 v[28:29], v[20:21], v[58:59]
	v_mul_f64 v[20:21], v[80:81], s[46:47]
	s_delay_alu instid0(VALU_DEP_4) | instskip(SKIP_1) | instid1(VALU_DEP_3)
	v_fma_f64 v[10:11], v[82:83], s[52:53], v[6:7]
	v_fma_f64 v[6:7], v[82:83], s[10:11], v[6:7]
	;; [unrolled: 1-line block ×4, first 2 shown]
	s_delay_alu instid0(VALU_DEP_4)
	v_add_f64 v[246:247], v[10:11], v[36:37]
	v_mul_f64 v[10:11], v[204:205], s[56:57]
	v_add_f64 v[6:7], v[6:7], v[32:33]
	v_mul_f64 v[32:33], v[80:81], s[20:21]
	v_add_f64 v[30:31], v[22:23], v[62:63]
	v_add_f64 v[24:25], v[18:19], v[60:61]
	v_mul_f64 v[18:19], v[204:205], s[50:51]
	v_fma_f64 v[12:13], v[78:79], s[26:27], v[10:11]
	v_fma_f64 v[10:11], v[78:79], s[26:27], -v[10:11]
	v_fma_f64 v[22:23], v[82:83], s[22:23], v[32:33]
	v_fma_f64 v[32:33], v[82:83], s[50:51], v[32:33]
	;; [unrolled: 1-line block ×3, first 2 shown]
	v_fma_f64 v[18:19], v[78:79], s[20:21], -v[18:19]
	v_add_f64 v[252:253], v[12:13], v[38:39]
	v_mul_f64 v[12:13], v[80:81], s[26:27]
	v_add_f64 v[248:249], v[10:11], v[34:35]
	v_add_f64 v[56:57], v[32:33], v[68:69]
	v_mul_f64 v[32:33], v[204:205], s[12:13]
	v_add_f64 v[20:21], v[20:21], v[66:67]
	v_add_f64 v[18:19], v[18:19], v[64:65]
	;; [unrolled: 1-line block ×3, first 2 shown]
	v_fma_f64 v[14:15], v[82:83], s[24:25], v[12:13]
	v_fma_f64 v[10:11], v[82:83], s[56:57], v[12:13]
	;; [unrolled: 1-line block ×3, first 2 shown]
	v_fma_f64 v[32:33], v[78:79], s[14:15], -v[32:33]
	s_delay_alu instid0(VALU_DEP_4) | instskip(SKIP_2) | instid1(VALU_DEP_2)
	v_add_f64 v[254:255], v[14:15], v[42:43]
	v_mul_f64 v[14:15], v[204:205], s[30:31]
	v_add_f64 v[250:251], v[10:11], v[40:41]
	v_fma_f64 v[10:11], v[78:79], s[28:29], v[14:15]
	v_fma_f64 v[14:15], v[78:79], s[28:29], -v[14:15]
	s_delay_alu instid0(VALU_DEP_2) | instskip(SKIP_4) | instid1(VALU_DEP_4)
	v_add_f64 v[12:13], v[10:11], v[46:47]
	v_fma_f64 v[10:11], v[82:83], s[48:49], v[16:17]
	v_fma_f64 v[16:17], v[82:83], s[30:31], v[16:17]
	v_add_f64 v[46:47], v[32:33], v[76:77]
	v_add_f64 v[14:15], v[14:15], v[44:45]
	;; [unrolled: 1-line block ×4, first 2 shown]
	v_mul_f64 v[34:35], v[80:81], s[14:15]
	v_add_f64 v[16:17], v[16:17], v[50:51]
	s_delay_alu instid0(VALU_DEP_2) | instskip(SKIP_2) | instid1(VALU_DEP_3)
	v_fma_f64 v[36:37], v[82:83], s[34:35], v[34:35]
	v_fma_f64 v[32:33], v[82:83], s[12:13], v[34:35]
	v_add_f64 v[34:35], v[224:225], v[228:229]
	v_add_f64 v[50:51], v[36:37], v[74:75]
	v_add_f64 v[36:37], v[226:227], -v[230:231]
	s_delay_alu instid0(VALU_DEP_4) | instskip(SKIP_2) | instid1(VALU_DEP_4)
	v_add_f64 v[44:45], v[32:33], v[8:9]
	v_add_f64 v[8:9], v[226:227], v[230:231]
	v_add_f64 v[32:33], v[224:225], -v[228:229]
	v_mul_f64 v[38:39], v[36:37], s[42:43]
	s_delay_alu instid0(VALU_DEP_1) | instskip(SKIP_1) | instid1(VALU_DEP_2)
	v_fma_f64 v[40:41], v[34:35], s[46:47], v[38:39]
	v_fma_f64 v[38:39], v[34:35], s[46:47], -v[38:39]
	v_add_f64 v[236:237], v[40:41], v[236:237]
	v_mul_f64 v[40:41], v[8:9], s[46:47]
	s_delay_alu instid0(VALU_DEP_3) | instskip(NEXT) | instid1(VALU_DEP_2)
	v_add_f64 v[224:225], v[38:39], v[0:1]
	v_fma_f64 v[0:1], v[32:33], s[42:43], v[40:41]
	v_fma_f64 v[42:43], v[32:33], s[54:55], v[40:41]
	s_delay_alu instid0(VALU_DEP_2) | instskip(SKIP_1) | instid1(VALU_DEP_3)
	v_add_f64 v[226:227], v[0:1], v[2:3]
	v_mul_f64 v[0:1], v[36:37], s[48:49]
	v_add_f64 v[238:239], v[42:43], v[238:239]
	s_delay_alu instid0(VALU_DEP_2) | instskip(SKIP_1) | instid1(VALU_DEP_2)
	v_fma_f64 v[2:3], v[34:35], s[28:29], v[0:1]
	v_fma_f64 v[0:1], v[34:35], s[28:29], -v[0:1]
	v_add_f64 v[240:241], v[2:3], v[240:241]
	v_mul_f64 v[2:3], v[8:9], s[28:29]
	s_delay_alu instid0(VALU_DEP_3) | instskip(NEXT) | instid1(VALU_DEP_2)
	v_add_f64 v[232:233], v[0:1], v[232:233]
	v_fma_f64 v[0:1], v[32:33], s[48:49], v[2:3]
	v_fma_f64 v[38:39], v[32:33], s[30:31], v[2:3]
	s_delay_alu instid0(VALU_DEP_2) | instskip(SKIP_1) | instid1(VALU_DEP_3)
	v_add_f64 v[234:235], v[0:1], v[234:235]
	v_mul_f64 v[0:1], v[36:37], s[38:39]
	v_add_f64 v[242:243], v[38:39], v[242:243]
	s_delay_alu instid0(VALU_DEP_2) | instskip(SKIP_1) | instid1(VALU_DEP_2)
	;; [unrolled: 13-line block ×4, first 2 shown]
	v_fma_f64 v[2:3], v[34:35], s[26:27], v[0:1]
	v_fma_f64 v[0:1], v[34:35], s[26:27], -v[0:1]
	v_add_f64 v[4:5], v[2:3], v[12:13]
	v_mul_f64 v[2:3], v[8:9], s[26:27]
	s_delay_alu instid0(VALU_DEP_3) | instskip(SKIP_1) | instid1(VALU_DEP_3)
	v_add_f64 v[0:1], v[0:1], v[14:15]
	v_mul_f64 v[14:15], v[36:37], s[36:37]
	v_fma_f64 v[6:7], v[32:33], s[56:57], v[2:3]
	v_fma_f64 v[2:3], v[32:33], s[24:25], v[2:3]
	s_delay_alu instid0(VALU_DEP_2) | instskip(NEXT) | instid1(VALU_DEP_2)
	v_add_f64 v[6:7], v[6:7], v[10:11]
	v_add_f64 v[2:3], v[2:3], v[16:17]
	v_mul_f64 v[16:17], v[8:9], s[16:17]
	v_fma_f64 v[10:11], v[34:35], s[16:17], v[14:15]
	v_fma_f64 v[14:15], v[34:35], s[16:17], -v[14:15]
	s_delay_alu instid0(VALU_DEP_3) | instskip(SKIP_1) | instid1(VALU_DEP_3)
	v_fma_f64 v[12:13], v[32:33], s[18:19], v[16:17]
	v_fma_f64 v[16:17], v[32:33], s[36:37], v[16:17]
	v_add_f64 v[14:15], v[14:15], v[26:27]
	v_add_f64 v[10:11], v[10:11], v[28:29]
	s_delay_alu instid0(VALU_DEP_4) | instskip(NEXT) | instid1(VALU_DEP_4)
	v_add_f64 v[12:13], v[12:13], v[30:31]
	v_add_f64 v[16:17], v[16:17], v[24:25]
	v_mul_f64 v[24:25], v[36:37], s[12:13]
	s_delay_alu instid0(VALU_DEP_1) | instskip(SKIP_1) | instid1(VALU_DEP_2)
	v_fma_f64 v[26:27], v[34:35], s[14:15], v[24:25]
	v_fma_f64 v[24:25], v[34:35], s[14:15], -v[24:25]
	v_add_f64 v[20:21], v[26:27], v[20:21]
	v_mul_f64 v[26:27], v[8:9], s[14:15]
	s_delay_alu instid0(VALU_DEP_3) | instskip(SKIP_1) | instid1(VALU_DEP_3)
	v_add_f64 v[24:25], v[24:25], v[18:19]
	v_mul_f64 v[8:9], v[8:9], s[8:9]
	v_fma_f64 v[18:19], v[32:33], s[12:13], v[26:27]
	v_fma_f64 v[28:29], v[32:33], s[34:35], v[26:27]
	s_delay_alu instid0(VALU_DEP_3) | instskip(SKIP_1) | instid1(VALU_DEP_4)
	v_fma_f64 v[30:31], v[32:33], s[10:11], v[8:9]
	v_fma_f64 v[8:9], v[32:33], s[52:53], v[8:9]
	v_add_f64 v[26:27], v[18:19], v[56:57]
	v_mul_f64 v[18:19], v[36:37], s[52:53]
	v_add_f64 v[22:23], v[28:29], v[22:23]
	v_add_f64 v[30:31], v[30:31], v[50:51]
	;; [unrolled: 1-line block ×3, first 2 shown]
	s_delay_alu instid0(VALU_DEP_4) | instskip(SKIP_1) | instid1(VALU_DEP_2)
	v_fma_f64 v[28:29], v[34:35], s[8:9], v[18:19]
	v_fma_f64 v[18:19], v[34:35], s[8:9], -v[18:19]
	v_add_f64 v[28:29], v[28:29], v[54:55]
	s_delay_alu instid0(VALU_DEP_2)
	v_add_f64 v[34:35], v[18:19], v[46:47]
	ds_store_b128 v49, v[220:223]
	ds_store_b128 v49, v[236:239] offset:16
	ds_store_b128 v49, v[240:243] offset:32
	ds_store_b128 v49, v[244:247] offset:48
	ds_store_b128 v49, v[252:255] offset:64
	ds_store_b128 v49, v[4:7] offset:80
	ds_store_b128 v49, v[10:13] offset:96
	ds_store_b128 v49, v[20:23] offset:112
	ds_store_b128 v49, v[28:31] offset:128
	ds_store_b128 v49, v[34:37] offset:144
	ds_store_b128 v49, v[24:27] offset:160
	ds_store_b128 v49, v[14:17] offset:176
	ds_store_b128 v49, v[0:3] offset:192
	ds_store_b128 v49, v[248:251] offset:208
	ds_store_b128 v49, v[228:231] offset:224
	ds_store_b128 v49, v[232:235] offset:240
	ds_store_b128 v49, v[224:227] offset:256
	s_waitcnt lgkmcnt(0)
	s_barrier
	buffer_gl0_inv
	ds_load_b128 v[236:239], v48
	ds_load_b128 v[28:31], v48 offset:4624
	ds_load_b128 v[20:23], v48 offset:9248
	;; [unrolled: 1-line block ×13, first 2 shown]
	s_and_saveexec_b32 s0, vcc_lo
	s_cbranch_execz .LBB0_7
; %bb.6:
	ds_load_b128 v[228:231], v48 offset:3808
	ds_load_b128 v[232:235], v48 offset:8432
	;; [unrolled: 1-line block ×4, first 2 shown]
	s_waitcnt lgkmcnt(0)
	scratch_store_b128 off, v[32:35], off   ; 16-byte Folded Spill
	ds_load_b128 v[32:35], v48 offset:22304
	s_waitcnt lgkmcnt(0)
	scratch_store_b128 off, v[32:35], off offset:16 ; 16-byte Folded Spill
	ds_load_b128 v[32:35], v48 offset:26928
	s_waitcnt lgkmcnt(0)
	scratch_store_b128 off, v[32:35], off offset:32 ; 16-byte Folded Spill
	;; [unrolled: 3-line block ×3, first 2 shown]
.LBB0_7:
	s_or_b32 exec_lo, exec_lo, s0
	s_waitcnt lgkmcnt(5)
	v_mul_f64 v[36:37], v[178:179], v[14:15]
	v_mul_f64 v[32:33], v[106:107], v[30:31]
	;; [unrolled: 1-line block ×3, first 2 shown]
	s_mov_b32 s14, 0xe976ee23
	s_mov_b32 s15, 0x3fe11646
	;; [unrolled: 1-line block ×20, first 2 shown]
	s_waitcnt lgkmcnt(0)
	s_waitcnt_vscnt null, 0x0
	s_barrier
	buffer_gl0_inv
	v_fma_f64 v[36:37], v[176:177], v[12:13], v[36:37]
	v_mul_f64 v[12:13], v[178:179], v[12:13]
	v_fma_f64 v[32:33], v[104:105], v[28:29], v[32:33]
	v_mul_f64 v[28:29], v[106:107], v[28:29]
	v_fma_f64 v[34:35], v[172:173], v[254:255], -v[34:35]
	s_delay_alu instid0(VALU_DEP_4) | instskip(SKIP_1) | instid1(VALU_DEP_4)
	v_fma_f64 v[38:39], v[176:177], v[14:15], -v[12:13]
	v_mul_f64 v[12:13], v[182:183], v[10:11]
	v_fma_f64 v[28:29], v[104:105], v[30:31], -v[28:29]
	v_mul_f64 v[30:31], v[166:167], v[22:23]
	s_delay_alu instid0(VALU_DEP_3) | instskip(SKIP_1) | instid1(VALU_DEP_3)
	v_fma_f64 v[40:41], v[180:181], v[8:9], v[12:13]
	v_mul_f64 v[8:9], v[182:183], v[8:9]
	v_fma_f64 v[30:31], v[164:165], v[20:21], v[30:31]
	v_mul_f64 v[20:21], v[166:167], v[20:21]
	s_delay_alu instid0(VALU_DEP_3) | instskip(SKIP_1) | instid1(VALU_DEP_3)
	v_fma_f64 v[42:43], v[180:181], v[10:11], -v[8:9]
	v_mul_f64 v[8:9], v[186:187], v[18:19]
	v_fma_f64 v[20:21], v[164:165], v[22:23], -v[20:21]
	v_mul_f64 v[22:23], v[170:171], v[26:27]
	s_delay_alu instid0(VALU_DEP_3) | instskip(SKIP_1) | instid1(VALU_DEP_3)
	v_fma_f64 v[44:45], v[184:185], v[16:17], v[8:9]
	v_mul_f64 v[8:9], v[186:187], v[16:17]
	v_fma_f64 v[22:23], v[168:169], v[24:25], v[22:23]
	v_mul_f64 v[24:25], v[170:171], v[24:25]
	v_add_f64 v[70:71], v[20:21], v[34:35]
	v_add_f64 v[76:77], v[36:37], v[44:45]
	v_fma_f64 v[46:47], v[184:185], v[18:19], -v[8:9]
	v_mul_f64 v[8:9], v[190:191], v[250:251]
	v_fma_f64 v[24:25], v[168:169], v[26:27], -v[24:25]
	v_mul_f64 v[26:27], v[174:175], v[254:255]
	v_add_f64 v[16:17], v[32:33], v[22:23]
	v_add_f64 v[22:23], v[32:33], -v[22:23]
	v_add_f64 v[44:45], v[36:37], -v[44:45]
	v_add_f64 v[104:105], v[38:39], v[46:47]
	v_fma_f64 v[49:50], v[188:189], v[248:249], v[8:9]
	v_mul_f64 v[8:9], v[190:191], v[248:249]
	v_fma_f64 v[26:27], v[172:173], v[252:253], v[26:27]
	v_add_f64 v[68:69], v[28:29], v[24:25]
	v_add_f64 v[24:25], v[28:29], -v[24:25]
	v_add_f64 v[46:47], v[38:39], -v[46:47]
	v_add_f64 v[78:79], v[40:41], v[49:50]
	v_fma_f64 v[54:55], v[188:189], v[250:251], -v[8:9]
	v_mul_f64 v[8:9], v[158:159], v[6:7]
	v_add_f64 v[18:19], v[30:31], v[26:27]
	v_add_f64 v[26:27], v[30:31], -v[26:27]
	s_delay_alu instid0(VALU_DEP_4) | instskip(NEXT) | instid1(VALU_DEP_4)
	v_add_f64 v[106:107], v[42:43], v[54:55]
	v_fma_f64 v[8:9], v[156:157], v[4:5], v[8:9]
	v_mul_f64 v[4:5], v[158:159], v[4:5]
	s_delay_alu instid0(VALU_DEP_4) | instskip(NEXT) | instid1(VALU_DEP_2)
	v_add_f64 v[28:29], v[26:27], -v[22:23]
	v_fma_f64 v[10:11], v[156:157], v[6:7], -v[4:5]
	v_mul_f64 v[4:5], v[162:163], v[2:3]
	s_delay_alu instid0(VALU_DEP_1) | instskip(SKIP_2) | instid1(VALU_DEP_3)
	v_fma_f64 v[12:13], v[160:161], v[0:1], v[4:5]
	v_mul_f64 v[0:1], v[162:163], v[0:1]
	v_add_f64 v[4:5], v[78:79], v[76:77]
	v_add_f64 v[30:31], v[12:13], -v[8:9]
	s_delay_alu instid0(VALU_DEP_3)
	v_fma_f64 v[14:15], v[160:161], v[2:3], -v[0:1]
	v_mul_f64 v[0:1], v[194:195], v[246:247]
	v_add_f64 v[64:65], v[8:9], v[12:13]
	v_add_f64 v[8:9], v[20:21], -v[34:35]
	v_add_f64 v[12:13], v[30:31], v[26:27]
	v_add_f64 v[72:73], v[10:11], v[14:15]
	v_fma_f64 v[56:57], v[192:193], v[244:245], v[0:1]
	v_mul_f64 v[0:1], v[194:195], v[244:245]
	v_add_f64 v[20:21], v[14:15], -v[10:11]
	v_add_f64 v[10:11], v[30:31], -v[26:27]
	;; [unrolled: 1-line block ×5, first 2 shown]
	v_add_f64 v[164:165], v[12:13], v[22:23]
	v_add_f64 v[34:35], v[72:73], -v[70:71]
	v_fma_f64 v[58:59], v[192:193], v[246:247], -v[0:1]
	v_mul_f64 v[0:1], v[202:203], v[242:243]
	v_add_f64 v[14:15], v[20:21], -v[8:9]
	v_mul_f64 v[160:161], v[10:11], s[14:15]
	v_add_f64 v[8:9], v[20:21], v[8:9]
	v_mul_f64 v[22:23], v[26:27], s[8:9]
	v_mul_f64 v[10:11], v[34:35], s[12:13]
	v_fma_f64 v[60:61], v[200:201], v[240:241], v[0:1]
	v_mul_f64 v[0:1], v[202:203], v[240:241]
	v_mul_f64 v[162:163], v[14:15], s[14:15]
	v_fma_f64 v[12:13], v[28:29], s[8:9], -v[160:161]
	v_add_f64 v[166:167], v[8:9], v[24:25]
	v_mul_f64 v[8:9], v[32:33], s[12:13]
	v_add_f64 v[24:25], v[24:25], -v[20:21]
	v_mul_f64 v[20:21], v[28:29], s[8:9]
	v_add_f64 v[80:81], v[56:57], v[60:61]
	v_fma_f64 v[62:63], v[200:201], v[242:243], -v[0:1]
	v_add_f64 v[0:1], v[18:19], v[16:17]
	v_add_f64 v[18:19], v[18:19], -v[16:17]
	v_add_f64 v[16:17], v[16:17], -v[64:65]
	v_fma_f64 v[14:15], v[164:165], s[16:17], v[12:13]
	v_fma_f64 v[12:13], v[26:27], s[8:9], -v[162:163]
	v_add_f64 v[82:83], v[80:81], v[4:5]
	v_add_f64 v[156:157], v[58:59], v[62:63]
	;; [unrolled: 1-line block ×4, first 2 shown]
	v_add_f64 v[64:65], v[68:69], -v[72:73]
	v_add_f64 v[70:71], v[70:71], -v[68:69]
	v_mul_f64 v[26:27], v[16:17], s[24:25]
	v_fma_f64 v[8:9], v[18:19], s[0:1], -v[8:9]
	v_fma_f64 v[16:17], v[30:31], s[22:23], -v[20:21]
	;; [unrolled: 1-line block ×3, first 2 shown]
	v_fma_f64 v[24:25], v[24:25], s[20:21], v[162:163]
	v_fma_f64 v[30:31], v[30:31], s[20:21], v[160:161]
	v_add_f64 v[4:5], v[106:107], v[104:105]
	v_fma_f64 v[12:13], v[166:167], s[16:17], v[12:13]
	v_add_f64 v[74:75], v[72:73], v[0:1]
	v_add_f64 v[0:1], v[236:237], v[66:67]
	v_mul_f64 v[28:29], v[64:65], s[24:25]
	v_fma_f64 v[18:19], v[18:19], s[18:19], -v[26:27]
	v_fma_f64 v[26:27], v[32:33], s[12:13], v[26:27]
	v_fma_f64 v[64:65], v[164:165], s[16:17], v[16:17]
	;; [unrolled: 1-line block ×5, first 2 shown]
	v_add_f64 v[158:159], v[156:157], v[4:5]
	v_add_f64 v[4:5], v[220:221], v[82:83]
	v_fma_f64 v[10:11], v[70:71], s[0:1], -v[10:11]
	v_add_f64 v[2:3], v[238:239], v[74:75]
	v_fma_f64 v[66:67], v[66:67], s[10:11], v[0:1]
	v_fma_f64 v[22:23], v[70:71], s[18:19], -v[28:29]
	v_fma_f64 v[28:29], v[34:35], s[12:13], v[28:29]
	v_add_f64 v[6:7], v[222:223], v[158:159]
	v_fma_f64 v[72:73], v[82:83], s[10:11], v[4:5]
	v_fma_f64 v[74:75], v[74:75], s[10:11], v[2:3]
	v_add_f64 v[34:35], v[26:27], v[66:67]
	v_add_f64 v[68:69], v[18:19], v[66:67]
	;; [unrolled: 1-line block ×3, first 2 shown]
	s_delay_alu instid0(VALU_DEP_4) | instskip(NEXT) | instid1(VALU_DEP_4)
	v_add_f64 v[22:23], v[22:23], v[74:75]
	v_add_f64 v[24:25], v[32:33], v[34:35]
	s_delay_alu instid0(VALU_DEP_4)
	v_add_f64 v[16:17], v[20:21], v[68:69]
	v_add_f64 v[20:21], v[68:69], -v[20:21]
	v_add_f64 v[170:171], v[10:11], v[74:75]
	v_add_f64 v[8:9], v[168:169], -v[12:13]
	;; [unrolled: 2-line block ×3, first 2 shown]
	v_add_f64 v[22:23], v[64:65], v[22:23]
	v_add_f64 v[64:65], v[28:29], v[74:75]
	v_add_f64 v[28:29], v[34:35], -v[32:33]
	v_add_f64 v[32:33], v[40:41], -v[49:50]
	;; [unrolled: 1-line block ×9, first 2 shown]
	v_fma_f64 v[74:75], v[158:159], s[10:11], v[6:7]
	v_add_f64 v[76:77], v[76:77], -v[80:81]
	v_add_f64 v[10:11], v[14:15], v[170:171]
	v_add_f64 v[14:15], v[170:171], -v[14:15]
	v_add_f64 v[26:27], v[64:65], -v[30:31]
	v_add_f64 v[30:31], v[30:31], v[64:65]
	v_add_f64 v[49:50], v[32:33], -v[44:45]
	;; [unrolled: 3-line block ×4, first 2 shown]
	v_mul_f64 v[40:41], v[49:50], s[8:9]
	v_mul_f64 v[64:65], v[36:37], s[14:15]
	v_add_f64 v[68:69], v[32:33], v[44:45]
	v_mul_f64 v[66:67], v[38:39], s[14:15]
	v_mul_f64 v[32:33], v[56:57], s[12:13]
	v_add_f64 v[70:71], v[34:35], v[46:47]
	v_mul_f64 v[34:35], v[60:61], s[12:13]
	v_fma_f64 v[40:41], v[80:81], s[22:23], -v[40:41]
	v_fma_f64 v[36:37], v[49:50], s[8:9], -v[64:65]
	v_mul_f64 v[49:50], v[76:77], s[24:25]
	v_fma_f64 v[32:33], v[58:59], s[0:1], -v[32:33]
	v_fma_f64 v[34:35], v[62:63], s[0:1], -v[34:35]
	s_delay_alu instid0(VALU_DEP_4)
	v_fma_f64 v[38:39], v[68:69], s[16:17], v[36:37]
	v_fma_f64 v[36:37], v[54:55], s[8:9], -v[66:67]
	v_fma_f64 v[44:45], v[58:59], s[18:19], -v[49:50]
	v_add_f64 v[78:79], v[32:33], v[72:73]
	v_fma_f64 v[58:59], v[68:69], s[16:17], v[40:41]
	v_add_f64 v[82:83], v[34:35], v[74:75]
	v_fma_f64 v[49:50], v[56:57], s[12:13], v[49:50]
	v_fma_f64 v[36:37], v[70:71], s[16:17], v[36:37]
	v_add_f64 v[44:45], v[44:45], v[72:73]
	s_delay_alu instid0(VALU_DEP_4)
	v_add_f64 v[34:35], v[38:39], v[82:83]
	v_add_f64 v[38:39], v[82:83], -v[38:39]
	v_add_f64 v[82:83], v[46:47], -v[42:43]
	v_mul_f64 v[42:43], v[54:55], s[8:9]
	v_add_f64 v[49:50], v[49:50], v[72:73]
	v_add_f64 v[32:33], v[78:79], -v[36:37]
	v_add_f64 v[36:37], v[36:37], v[78:79]
	v_add_f64 v[78:79], v[104:105], -v[156:157]
	v_fma_f64 v[42:43], v[82:83], s[22:23], -v[42:43]
	s_delay_alu instid0(VALU_DEP_2) | instskip(NEXT) | instid1(VALU_DEP_1)
	v_mul_f64 v[54:55], v[78:79], s[24:25]
	v_fma_f64 v[46:47], v[62:63], s[18:19], -v[54:55]
	s_delay_alu instid0(VALU_DEP_3) | instskip(SKIP_1) | instid1(VALU_DEP_3)
	v_fma_f64 v[62:63], v[70:71], s[16:17], v[42:43]
	v_fma_f64 v[54:55], v[60:61], s[12:13], v[54:55]
	v_add_f64 v[46:47], v[46:47], v[74:75]
	s_delay_alu instid0(VALU_DEP_3) | instskip(SKIP_2) | instid1(VALU_DEP_4)
	v_add_f64 v[40:41], v[62:63], v[44:45]
	v_add_f64 v[44:45], v[44:45], -v[62:63]
	v_fma_f64 v[62:63], v[82:83], s[20:21], v[66:67]
	v_add_f64 v[42:43], v[46:47], -v[58:59]
	v_add_f64 v[46:47], v[58:59], v[46:47]
	v_fma_f64 v[58:59], v[80:81], s[20:21], v[64:65]
	s_delay_alu instid0(VALU_DEP_4) | instskip(SKIP_1) | instid1(VALU_DEP_3)
	v_fma_f64 v[60:61], v[70:71], s[16:17], v[62:63]
	v_add_f64 v[62:63], v[54:55], v[74:75]
	v_fma_f64 v[58:59], v[68:69], s[16:17], v[58:59]
	s_delay_alu instid0(VALU_DEP_3) | instskip(SKIP_1) | instid1(VALU_DEP_3)
	v_add_f64 v[54:55], v[60:61], v[49:50]
	v_add_f64 v[104:105], v[49:50], -v[60:61]
	v_add_f64 v[56:57], v[62:63], -v[58:59]
	v_add_f64 v[106:107], v[58:59], v[62:63]
	ds_store_b128 v52, v[0:3]
	ds_store_b128 v52, v[24:27] offset:272
	ds_store_b128 v52, v[16:19] offset:544
	;; [unrolled: 1-line block ×6, first 2 shown]
	ds_store_b128 v53, v[4:7]
	ds_store_b128 v53, v[54:57] offset:272
	ds_store_b128 v53, v[40:43] offset:544
	;; [unrolled: 1-line block ×6, first 2 shown]
	s_and_saveexec_b32 s26, vcc_lo
	s_cbranch_execz .LBB0_9
; %bb.8:
	s_clause 0x6
	scratch_load_b128 v[32:35], off, off offset:412
	scratch_load_b128 v[53:56], off, off offset:48
	;; [unrolled: 1-line block ×7, first 2 shown]
	s_waitcnt vmcnt(5)
	v_mul_f64 v[0:1], v[34:35], v[53:54]
	s_waitcnt vmcnt(4)
	v_mul_f64 v[2:3], v[26:27], v[232:233]
	;; [unrolled: 2-line block ×3, first 2 shown]
	v_mul_f64 v[14:15], v[38:39], v[51:52]
	scratch_load_b128 v[38:41], off, off    ; 16-byte Folded Reload
	s_waitcnt vmcnt(2)
	v_mul_f64 v[6:7], v[30:31], v[224:225]
	v_mul_f64 v[8:9], v[26:27], v[234:235]
	;; [unrolled: 1-line block ×4, first 2 shown]
	s_waitcnt vmcnt(1)
	v_mul_f64 v[16:17], v[90:91], v[44:45]
	v_mul_f64 v[22:23], v[90:91], v[42:43]
	v_fma_f64 v[0:1], v[32:33], v[55:56], -v[0:1]
	v_fma_f64 v[2:3], v[24:25], v[234:235], -v[2:3]
	;; [unrolled: 1-line block ×3, first 2 shown]
	v_fma_f64 v[14:15], v[36:37], v[49:50], v[14:15]
	v_fma_f64 v[6:7], v[28:29], v[226:227], -v[6:7]
	v_fma_f64 v[8:9], v[24:25], v[232:233], v[8:9]
	v_fma_f64 v[10:11], v[32:33], v[53:54], v[10:11]
	;; [unrolled: 1-line block ×4, first 2 shown]
	v_fma_f64 v[22:23], v[88:89], v[44:45], -v[22:23]
	v_add_f64 v[24:25], v[2:3], v[0:1]
	v_add_f64 v[26:27], v[6:7], v[4:5]
	v_add_f64 v[4:5], v[6:7], -v[4:5]
	v_add_f64 v[28:29], v[8:9], v[10:11]
	v_add_f64 v[30:31], v[12:13], v[14:15]
	v_add_f64 v[12:13], v[12:13], -v[14:15]
	v_add_f64 v[8:9], v[8:9], -v[10:11]
	;; [unrolled: 1-line block ×3, first 2 shown]
	v_add_f64 v[10:11], v[26:27], v[24:25]
	v_add_f64 v[0:1], v[30:31], v[28:29]
	s_delay_alu instid0(VALU_DEP_4) | instskip(NEXT) | instid1(VALU_DEP_1)
	v_add_f64 v[34:35], v[12:13], -v[8:9]
	v_mul_f64 v[44:45], v[34:35], s[8:9]
	s_waitcnt vmcnt(0)
	v_mul_f64 v[18:19], v[86:87], v[40:41]
	v_mul_f64 v[20:21], v[86:87], v[38:39]
	s_delay_alu instid0(VALU_DEP_2) | instskip(NEXT) | instid1(VALU_DEP_2)
	v_fma_f64 v[18:19], v[84:85], v[38:39], v[18:19]
	v_fma_f64 v[20:21], v[84:85], v[40:41], -v[20:21]
	v_add_f64 v[38:39], v[4:5], -v[6:7]
	s_delay_alu instid0(VALU_DEP_3) | instskip(NEXT) | instid1(VALU_DEP_3)
	v_add_f64 v[32:33], v[16:17], -v[18:19]
	v_add_f64 v[14:15], v[20:21], v[22:23]
	v_add_f64 v[16:17], v[18:19], v[16:17]
	v_add_f64 v[18:19], v[22:23], -v[20:21]
	v_mul_f64 v[46:47], v[38:39], s[8:9]
	v_add_f64 v[2:3], v[32:33], -v[12:13]
	v_add_f64 v[20:21], v[24:25], -v[14:15]
	v_add_f64 v[22:23], v[28:29], -v[16:17]
	v_add_f64 v[10:11], v[14:15], v[10:11]
	v_add_f64 v[14:15], v[14:15], -v[26:27]
	v_add_f64 v[36:37], v[18:19], -v[4:5]
	v_add_f64 v[40:41], v[16:17], v[0:1]
	v_add_f64 v[16:17], v[16:17], -v[30:31]
	v_add_f64 v[42:43], v[8:9], -v[32:33]
	v_add_f64 v[12:13], v[32:33], v[12:13]
	v_add_f64 v[4:5], v[18:19], v[4:5]
	v_add_f64 v[18:19], v[6:7], -v[18:19]
	v_add_f64 v[24:25], v[26:27], -v[24:25]
	;; [unrolled: 1-line block ×3, first 2 shown]
	v_mul_f64 v[32:33], v[2:3], s[14:15]
	v_mul_f64 v[20:21], v[20:21], s[24:25]
	;; [unrolled: 1-line block ×3, first 2 shown]
	v_add_f64 v[2:3], v[230:231], v[10:11]
	v_mul_f64 v[26:27], v[14:15], s[12:13]
	v_mul_f64 v[36:37], v[36:37], s[14:15]
	v_add_f64 v[0:1], v[228:229], v[40:41]
	v_mul_f64 v[30:31], v[16:17], s[12:13]
	v_add_f64 v[8:9], v[12:13], v[8:9]
	v_add_f64 v[4:5], v[4:5], v[6:7]
	v_fma_f64 v[6:7], v[42:43], s[20:21], v[32:33]
	v_fma_f64 v[12:13], v[14:15], s[12:13], v[20:21]
	;; [unrolled: 1-line block ×3, first 2 shown]
	v_fma_f64 v[16:17], v[42:43], s[22:23], -v[44:45]
	v_fma_f64 v[32:33], v[34:35], s[8:9], -v[32:33]
	v_fma_f64 v[10:11], v[10:11], s[10:11], v[2:3]
	v_fma_f64 v[20:21], v[24:25], s[18:19], -v[20:21]
	v_fma_f64 v[24:25], v[24:25], s[0:1], -v[26:27]
	v_fma_f64 v[26:27], v[18:19], s[20:21], v[36:37]
	;; [unrolled: 3-line block ×4, first 2 shown]
	v_fma_f64 v[16:17], v[8:9], s[16:17], v[16:17]
	v_fma_f64 v[8:9], v[8:9], s[16:17], v[32:33]
	v_add_f64 v[12:13], v[12:13], v[10:11]
	v_add_f64 v[20:21], v[20:21], v[10:11]
	;; [unrolled: 1-line block ×3, first 2 shown]
	v_fma_f64 v[32:33], v[4:5], s[16:17], v[26:27]
	v_fma_f64 v[38:39], v[4:5], s[16:17], v[18:19]
	;; [unrolled: 1-line block ×3, first 2 shown]
	v_add_f64 v[34:35], v[14:15], v[36:37]
	v_add_f64 v[40:41], v[22:23], v[36:37]
	;; [unrolled: 1-line block ×5, first 2 shown]
	v_add_f64 v[22:23], v[20:21], -v[16:17]
	v_add_f64 v[26:27], v[12:13], -v[30:31]
	;; [unrolled: 1-line block ×3, first 2 shown]
	v_add_f64 v[18:19], v[8:9], v[24:25]
	v_add_f64 v[24:25], v[32:33], v[34:35]
	;; [unrolled: 1-line block ×3, first 2 shown]
	v_add_f64 v[16:17], v[28:29], -v[4:5]
	v_add_f64 v[12:13], v[4:5], v[28:29]
	s_clause 0x1
	scratch_load_b32 v28, off, off offset:348
	scratch_load_b32 v29, off, off offset:352
	v_add_f64 v[8:9], v[40:41], -v[38:39]
	v_add_f64 v[4:5], v[34:35], -v[32:33]
	s_waitcnt vmcnt(0)
	v_mad_u16 v28, 0x77, v28, v29
	s_delay_alu instid0(VALU_DEP_1) | instskip(NEXT) | instid1(VALU_DEP_1)
	v_and_b32_e32 v28, 0xffff, v28
	v_lshlrev_b32_e32 v28, 4, v28
	ds_store_b128 v28, v[0:3]
	ds_store_b128 v28, v[24:27] offset:272
	ds_store_b128 v28, v[20:23] offset:544
	;; [unrolled: 1-line block ×6, first 2 shown]
.LBB0_9:
	s_or_b32 exec_lo, exec_lo, s26
	s_waitcnt lgkmcnt(0)
	s_barrier
	buffer_gl0_inv
	ds_load_b128 v[0:3], v48 offset:1904
	ds_load_b128 v[4:7], v48 offset:30464
	ds_load_b128 v[68:71], v48
	ds_load_b128 v[8:11], v48 offset:3808
	ds_load_b128 v[16:19], v48 offset:5712
	;; [unrolled: 1-line block ×14, first 2 shown]
	s_mov_b32 s8, 0x5d8e7cdc
	s_mov_b32 s10, 0x370991
	;; [unrolled: 1-line block ×4, first 2 shown]
	s_waitcnt lgkmcnt(16)
	v_mul_f64 v[14:15], v[146:147], v[0:1]
	v_mul_f64 v[12:13], v[146:147], v[2:3]
	s_waitcnt lgkmcnt(15)
	v_mul_f64 v[44:45], v[154:155], v[4:5]
	s_waitcnt lgkmcnt(13)
	v_mul_f64 v[46:47], v[102:103], v[8:9]
	v_mul_f64 v[59:60], v[102:103], v[10:11]
	s_waitcnt lgkmcnt(12)
	v_mul_f64 v[63:64], v[98:99], v[16:17]
	s_waitcnt lgkmcnt(11)
	v_mul_f64 v[65:66], v[94:95], v[22:23]
	v_mul_f64 v[88:89], v[94:95], v[20:21]
	s_waitcnt lgkmcnt(10)
	v_mul_f64 v[90:91], v[126:127], v[26:27]
	v_mul_f64 v[94:95], v[126:127], v[24:25]
	s_waitcnt lgkmcnt(9)
	v_mul_f64 v[102:103], v[118:119], v[28:29]
	s_waitcnt lgkmcnt(8)
	v_mul_f64 v[104:105], v[114:115], v[34:35]
	v_mul_f64 v[106:107], v[114:115], v[32:33]
	s_waitcnt lgkmcnt(5)
	v_mul_f64 v[114:115], v[134:135], v[55:56]
	s_waitcnt lgkmcnt(4)
	;; [unrolled: 2-line block ×3, first 2 shown]
	v_mul_f64 v[57:58], v[150:151], v[40:41]
	v_mul_f64 v[130:131], v[130:131], v[72:73]
	s_mov_b32 s20, 0x7c9e640b
	s_mov_b32 s22, 0x2b2883cd
	;; [unrolled: 1-line block ×21, first 2 shown]
	v_fma_f64 v[14:15], v[144:145], v[2:3], -v[14:15]
	v_fma_f64 v[61:62], v[144:145], v[0:1], v[12:13]
	v_mul_f64 v[2:3], v[154:155], v[6:7]
	v_fma_f64 v[0:1], v[152:153], v[6:7], -v[44:45]
	v_mul_f64 v[6:7], v[150:151], v[42:43]
	v_mul_f64 v[44:45], v[98:99], v[18:19]
	v_fma_f64 v[46:47], v[100:101], v[10:11], -v[46:47]
	v_mul_f64 v[10:11], v[110:111], v[38:39]
	v_fma_f64 v[59:60], v[100:101], v[8:9], v[59:60]
	v_fma_f64 v[63:64], v[96:97], v[18:19], -v[63:64]
	v_fma_f64 v[65:66], v[92:93], v[20:21], v[65:66]
	v_fma_f64 v[88:89], v[92:93], v[22:23], -v[88:89]
	v_mul_f64 v[98:99], v[118:119], v[30:31]
	v_mul_f64 v[118:119], v[134:135], v[53:54]
	v_mul_f64 v[134:135], v[122:123], v[78:79]
	v_fma_f64 v[12:13], v[148:149], v[42:43], -v[57:58]
	v_mul_f64 v[42:43], v[110:111], v[36:37]
	v_mul_f64 v[57:58], v[138:139], v[51:52]
	;; [unrolled: 1-line block ×7, first 2 shown]
	s_mov_b32 s25, 0xbfefdd0d
	s_mov_b32 s27, 0x3fb79ee6
	;; [unrolled: 1-line block ×13, first 2 shown]
	v_fma_f64 v[20:21], v[112:113], v[32:33], v[104:105]
	s_mov_b32 s29, 0x3fefdd0d
	v_add_f64 v[138:139], v[70:71], v[14:15]
	v_add_f64 v[100:101], v[68:69], v[61:62]
	v_fma_f64 v[2:3], v[152:153], v[4:5], v[2:3]
	v_add_f64 v[144:145], v[14:15], -v[0:1]
	v_add_f64 v[146:147], v[14:15], v[0:1]
	v_fma_f64 v[14:15], v[148:149], v[40:41], v[6:7]
	v_fma_f64 v[148:149], v[96:97], v[16:17], v[44:45]
	;; [unrolled: 1-line block ×3, first 2 shown]
	v_fma_f64 v[90:91], v[124:125], v[26:27], -v[94:95]
	v_mul_f64 v[152:153], v[198:199], v[80:81]
	v_fma_f64 v[40:41], v[116:117], v[30:31], -v[102:103]
	v_fma_f64 v[4:5], v[108:109], v[36:37], v[10:11]
	v_fma_f64 v[22:23], v[116:117], v[28:29], v[98:99]
	;; [unrolled: 1-line block ×3, first 2 shown]
	v_fma_f64 v[28:29], v[132:133], v[55:56], -v[118:119]
	v_add_f64 v[92:93], v[46:47], -v[12:13]
	v_add_f64 v[94:95], v[46:47], v[12:13]
	v_fma_f64 v[6:7], v[136:137], v[49:50], v[57:58]
	v_fma_f64 v[8:9], v[108:109], v[38:39], -v[42:43]
	v_fma_f64 v[10:11], v[136:137], v[51:52], -v[110:111]
	v_fma_f64 v[30:31], v[128:129], v[72:73], v[126:127]
	v_fma_f64 v[42:43], v[128:129], v[74:75], -v[130:131]
	v_fma_f64 v[36:37], v[120:121], v[76:77], v[134:135]
	v_fma_f64 v[24:25], v[112:113], v[34:35], -v[106:107]
	v_fma_f64 v[38:39], v[120:121], v[78:79], -v[122:123]
	v_fma_f64 v[34:35], v[196:197], v[80:81], v[150:151]
	v_fma_f64 v[18:19], v[140:141], v[84:85], v[154:155]
	v_fma_f64 v[16:17], v[140:141], v[86:87], -v[142:143]
	s_mov_b32 s39, 0x3feec746
	s_mov_b32 s45, 0x3fe9895b
	s_mov_b32 s51, 0x3fe0d888
	s_mov_b32 s28, s24
	s_mov_b32 s38, s30
	s_mov_b32 s44, s36
	s_mov_b32 s50, s40
	s_mov_b32 s54, s46
	v_add_f64 v[46:47], v[138:139], v[46:47]
	v_add_f64 v[49:50], v[100:101], v[59:60]
	v_add_f64 v[51:52], v[61:62], v[2:3]
	v_add_f64 v[53:54], v[61:62], -v[2:3]
	v_mul_f64 v[55:56], v[144:145], s[8:9]
	v_mul_f64 v[57:58], v[146:147], s[10:11]
	;; [unrolled: 1-line block ×6, first 2 shown]
	v_fma_f64 v[32:33], v[196:197], v[82:83], -v[152:153]
	v_add_f64 v[78:79], v[59:60], v[14:15]
	v_add_f64 v[59:60], v[59:60], -v[14:15]
	v_mul_f64 v[80:81], v[144:145], s[24:25]
	v_mul_f64 v[82:83], v[146:147], s[26:27]
	;; [unrolled: 1-line block ×24, first 2 shown]
	v_add_f64 v[178:179], v[63:64], -v[16:17]
	v_add_f64 v[46:47], v[46:47], v[63:64]
	v_add_f64 v[49:50], v[49:50], v[148:149]
	v_add_f64 v[63:64], v[63:64], v[16:17]
	v_mul_f64 v[92:93], v[92:93], s[0:1]
	v_fma_f64 v[136:137], v[51:52], s[10:11], v[55:56]
	v_fma_f64 v[138:139], v[53:54], s[0:1], v[57:58]
	v_fma_f64 v[55:56], v[51:52], s[10:11], -v[55:56]
	v_fma_f64 v[57:58], v[53:54], s[8:9], v[57:58]
	v_fma_f64 v[140:141], v[51:52], s[16:17], v[61:62]
	v_fma_f64 v[142:143], v[53:54], s[12:13], v[72:73]
	v_fma_f64 v[61:62], v[51:52], s[16:17], -v[61:62]
	v_fma_f64 v[72:73], v[53:54], s[14:15], v[72:73]
	;; [unrolled: 4-line block ×8, first 2 shown]
	v_fma_f64 v[104:105], v[78:79], s[16:17], v[108:109]
	v_fma_f64 v[106:107], v[59:60], s[12:13], v[110:111]
	v_add_f64 v[46:47], v[46:47], v[88:89]
	v_add_f64 v[49:50], v[49:50], v[65:66]
	v_fma_f64 v[108:109], v[78:79], s[16:17], -v[108:109]
	v_fma_f64 v[110:111], v[59:60], s[14:15], v[110:111]
	v_fma_f64 v[170:171], v[78:79], s[26:27], v[112:113]
	;; [unrolled: 1-line block ×3, first 2 shown]
	v_fma_f64 v[112:113], v[78:79], s[26:27], -v[112:113]
	v_fma_f64 v[114:115], v[59:60], s[24:25], v[114:115]
	v_fma_f64 v[174:175], v[78:79], s[42:43], v[116:117]
	;; [unrolled: 1-line block ×3, first 2 shown]
	v_add_f64 v[136:137], v[68:69], v[136:137]
	v_add_f64 v[138:139], v[70:71], v[138:139]
	;; [unrolled: 1-line block ×10, first 2 shown]
	v_mul_f64 v[94:95], v[94:95], s[10:11]
	v_add_f64 v[74:75], v[68:69], v[74:75]
	v_add_f64 v[76:77], v[70:71], v[76:77]
	;; [unrolled: 1-line block ×34, first 2 shown]
	v_fma_f64 v[112:113], v[78:79], s[42:43], -v[116:117]
	v_fma_f64 v[114:115], v[59:60], s[36:37], v[118:119]
	v_fma_f64 v[116:117], v[78:79], s[52:53], v[120:121]
	v_fma_f64 v[118:119], v[59:60], s[54:55], v[122:123]
	v_fma_f64 v[120:121], v[78:79], s[52:53], -v[120:121]
	v_fma_f64 v[122:123], v[59:60], s[46:47], v[122:123]
	v_fma_f64 v[136:137], v[78:79], s[48:49], v[124:125]
	v_fma_f64 v[138:139], v[59:60], s[40:41], v[126:127]
	;; [unrolled: 4-line block ×4, first 2 shown]
	v_fma_f64 v[132:133], v[78:79], s[22:23], -v[132:133]
	v_fma_f64 v[134:135], v[59:60], s[18:19], v[134:135]
	v_add_f64 v[46:47], v[46:47], v[40:41]
	v_add_f64 v[49:50], v[49:50], v[22:23]
	;; [unrolled: 1-line block ×3, first 2 shown]
	v_mul_f64 v[172:173], v[178:179], s[20:21]
	v_add_f64 v[148:149], v[148:149], -v[18:19]
	v_mul_f64 v[174:175], v[63:64], s[22:23]
	v_fma_f64 v[176:177], v[78:79], s[10:11], v[92:93]
	v_fma_f64 v[180:181], v[59:60], s[8:9], v[94:95]
	v_fma_f64 v[78:79], v[78:79], s[10:11], -v[92:93]
	v_mul_f64 v[92:93], v[178:179], s[36:37]
	v_fma_f64 v[59:60], v[59:60], s[0:1], v[94:95]
	v_mul_f64 v[94:95], v[63:64], s[42:43]
	v_add_f64 v[73:74], v[112:113], v[74:75]
	v_mul_f64 v[112:113], v[178:179], s[54:55]
	v_add_f64 v[75:76], v[114:115], v[76:77]
	v_add_f64 v[116:117], v[116:117], v[150:151]
	;; [unrolled: 1-line block ×5, first 2 shown]
	v_mul_f64 v[122:123], v[63:64], s[52:53]
	v_add_f64 v[136:137], v[136:137], v[154:155]
	v_mul_f64 v[154:155], v[178:179], s[38:39]
	v_add_f64 v[138:139], v[138:139], v[156:157]
	v_mul_f64 v[156:157], v[63:64], s[34:35]
	v_add_f64 v[84:85], v[124:125], v[84:85]
	v_mul_f64 v[124:125], v[178:179], s[12:13]
	v_add_f64 v[86:87], v[126:127], v[86:87]
	v_mul_f64 v[126:127], v[63:64], s[16:17]
	v_add_f64 v[140:141], v[140:141], v[158:159]
	v_mul_f64 v[158:159], v[178:179], s[8:9]
	v_add_f64 v[46:47], v[46:47], v[24:25]
	v_add_f64 v[49:50], v[49:50], v[20:21]
	v_add_f64 v[142:143], v[142:143], v[160:161]
	v_fma_f64 v[114:115], v[170:171], s[22:23], v[172:173]
	v_fma_f64 v[172:173], v[170:171], s[22:23], -v[172:173]
	v_fma_f64 v[150:151], v[148:149], s[18:19], v[174:175]
	v_fma_f64 v[174:175], v[148:149], s[20:21], v[174:175]
	v_mul_f64 v[160:161], v[63:64], s[10:11]
	v_add_f64 v[96:97], v[128:129], v[96:97]
	v_fma_f64 v[152:153], v[170:171], s[42:43], v[92:93]
	v_add_f64 v[98:99], v[130:131], v[98:99]
	v_fma_f64 v[120:121], v[148:149], s[44:45], v[94:95]
	v_mul_f64 v[128:129], v[178:179], s[24:25]
	v_mul_f64 v[130:131], v[63:64], s[26:27]
	v_add_f64 v[144:145], v[144:145], v[162:163]
	v_mul_f64 v[162:163], v[178:179], s[40:41]
	v_mul_f64 v[63:64], v[63:64], s[48:49]
	v_add_f64 v[102:103], v[134:135], v[102:103]
	v_add_f64 v[134:135], v[88:89], -v[32:33]
	v_fma_f64 v[92:93], v[170:171], s[42:43], -v[92:93]
	v_add_f64 v[88:89], v[88:89], v[32:33]
	v_add_f64 v[146:147], v[146:147], v[164:165]
	;; [unrolled: 1-line block ×7, first 2 shown]
	v_fma_f64 v[94:95], v[148:149], s[36:37], v[94:95]
	v_fma_f64 v[166:167], v[170:171], s[10:11], v[158:159]
	v_add_f64 v[46:47], v[46:47], v[8:9]
	v_add_f64 v[49:50], v[49:50], v[4:5]
	v_fma_f64 v[158:159], v[170:171], s[10:11], -v[158:159]
	v_add_f64 v[59:60], v[114:115], v[67:68]
	v_add_f64 v[55:56], v[172:173], v[55:56]
	;; [unrolled: 1-line block ×4, first 2 shown]
	v_fma_f64 v[114:115], v[148:149], s[54:55], v[122:123]
	v_fma_f64 v[150:151], v[170:171], s[34:35], -v[154:155]
	v_add_f64 v[69:70], v[152:153], v[104:105]
	v_fma_f64 v[104:105], v[170:171], s[52:53], v[112:113]
	v_add_f64 v[77:78], v[120:121], v[106:107]
	v_fma_f64 v[106:107], v[148:149], s[46:47], v[122:123]
	v_fma_f64 v[112:113], v[170:171], s[52:53], -v[112:113]
	v_fma_f64 v[120:121], v[170:171], s[34:35], v[154:155]
	v_fma_f64 v[122:123], v[148:149], s[30:31], v[156:157]
	v_fma_f64 v[152:153], v[148:149], s[38:39], v[156:157]
	v_fma_f64 v[154:155], v[170:171], s[16:17], v[124:125]
	v_fma_f64 v[156:157], v[148:149], s[14:15], v[126:127]
	v_fma_f64 v[124:125], v[170:171], s[16:17], -v[124:125]
	v_fma_f64 v[126:127], v[148:149], s[12:13], v[126:127]
	v_fma_f64 v[168:169], v[148:149], s[0:1], v[160:161]
	v_fma_f64 v[160:161], v[148:149], s[8:9], v[160:161]
	v_fma_f64 v[172:173], v[170:171], s[26:27], v[128:129]
	v_fma_f64 v[174:175], v[148:149], s[28:29], v[130:131]
	v_fma_f64 v[128:129], v[170:171], s[26:27], -v[128:129]
	v_fma_f64 v[130:131], v[148:149], s[24:25], v[130:131]
	v_fma_f64 v[176:177], v[170:171], s[48:49], v[162:163]
	;; [unrolled: 1-line block ×3, first 2 shown]
	v_fma_f64 v[162:163], v[170:171], s[48:49], -v[162:163]
	v_fma_f64 v[63:64], v[148:149], s[40:41], v[63:64]
	v_add_f64 v[148:149], v[65:66], v[34:35]
	v_mul_f64 v[170:171], v[134:135], s[24:25]
	v_add_f64 v[61:62], v[92:93], v[61:62]
	v_mul_f64 v[92:93], v[134:135], s[46:47]
	v_add_f64 v[65:66], v[65:66], -v[34:35]
	v_mul_f64 v[180:181], v[88:89], s[26:27]
	v_add_f64 v[71:72], v[94:95], v[71:72]
	v_add_f64 v[46:47], v[46:47], v[10:11]
	;; [unrolled: 1-line block ×3, first 2 shown]
	v_mul_f64 v[94:95], v[88:89], s[52:53]
	v_add_f64 v[140:141], v[166:167], v[140:141]
	v_mul_f64 v[166:167], v[88:89], s[42:43]
	v_add_f64 v[96:97], v[158:159], v[96:97]
	v_add_f64 v[75:76], v[114:115], v[75:76]
	v_mul_f64 v[114:115], v[134:135], s[0:1]
	v_add_f64 v[79:80], v[150:151], v[80:81]
	;; [unrolled: 3-line block ×3, first 2 shown]
	v_add_f64 v[110:111], v[90:91], v[38:39]
	v_add_f64 v[116:117], v[120:121], v[116:117]
	;; [unrolled: 1-line block ×3, first 2 shown]
	v_mul_f64 v[112:113], v[88:89], s[34:35]
	v_add_f64 v[118:119], v[122:123], v[118:119]
	v_mul_f64 v[150:151], v[88:89], s[10:11]
	v_add_f64 v[81:82], v[152:153], v[82:83]
	v_add_f64 v[136:137], v[154:155], v[136:137]
	;; [unrolled: 1-line block ×3, first 2 shown]
	v_mul_f64 v[154:155], v[88:89], s[22:23]
	v_add_f64 v[83:84], v[124:125], v[84:85]
	v_mul_f64 v[124:125], v[88:89], s[48:49]
	v_add_f64 v[85:86], v[126:127], v[86:87]
	v_mul_f64 v[87:88], v[88:89], s[16:17]
	v_add_f64 v[90:91], v[90:91], -v[38:39]
	v_mul_f64 v[152:153], v[134:135], s[20:21]
	v_add_f64 v[138:139], v[156:157], v[138:139]
	v_mul_f64 v[156:157], v[134:135], s[40:41]
	v_mul_f64 v[126:127], v[134:135], s[44:45]
	v_fma_f64 v[120:121], v[148:149], s[26:27], v[170:171]
	v_fma_f64 v[170:171], v[148:149], s[26:27], -v[170:171]
	v_fma_f64 v[168:169], v[148:149], s[52:53], v[92:93]
	v_mul_f64 v[134:135], v[134:135], s[12:13]
	v_fma_f64 v[122:123], v[65:66], s[28:29], v[180:181]
	v_fma_f64 v[180:181], v[65:66], s[24:25], v[180:181]
	v_add_f64 v[46:47], v[46:47], v[28:29]
	v_add_f64 v[49:50], v[49:50], v[26:27]
	v_fma_f64 v[158:159], v[65:66], s[54:55], v[94:95]
	v_fma_f64 v[92:93], v[148:149], s[52:53], -v[92:93]
	v_fma_f64 v[94:95], v[65:66], s[46:47], v[94:95]
	v_add_f64 v[98:99], v[160:161], v[98:99]
	v_add_f64 v[146:147], v[174:175], v[146:147]
	;; [unrolled: 1-line block ×6, first 2 shown]
	v_fma_f64 v[160:161], v[148:149], s[34:35], v[108:109]
	v_fma_f64 v[108:109], v[148:149], s[34:35], -v[108:109]
	v_add_f64 v[51:52], v[162:163], v[51:52]
	v_add_f64 v[53:54], v[63:64], v[53:54]
	v_fma_f64 v[174:175], v[65:66], s[36:37], v[166:167]
	v_fma_f64 v[166:167], v[65:66], s[44:45], v[166:167]
	v_add_f64 v[144:145], v[172:173], v[144:145]
	v_fma_f64 v[132:133], v[65:66], s[0:1], v[150:151]
	v_fma_f64 v[162:163], v[65:66], s[18:19], v[154:155]
	;; [unrolled: 1-line block ×5, first 2 shown]
	v_fma_f64 v[156:157], v[148:149], s[48:49], -v[156:157]
	v_add_f64 v[59:60], v[120:121], v[59:60]
	v_fma_f64 v[120:121], v[148:149], s[10:11], v[114:115]
	v_fma_f64 v[114:115], v[148:149], s[10:11], -v[114:115]
	v_add_f64 v[69:70], v[168:169], v[69:70]
	v_add_f64 v[168:169], v[40:41], v[42:43]
	v_add_f64 v[40:41], v[40:41], -v[42:43]
	v_add_f64 v[42:43], v[46:47], v[42:43]
	v_add_f64 v[63:64], v[122:123], v[67:68]
	;; [unrolled: 1-line block ×4, first 2 shown]
	v_fma_f64 v[67:68], v[65:66], s[30:31], v[112:113]
	v_fma_f64 v[112:113], v[65:66], s[38:39], v[112:113]
	;; [unrolled: 1-line block ×6, first 2 shown]
	v_add_f64 v[87:88], v[44:45], v[36:37]
	v_add_f64 v[44:45], v[44:45], -v[36:37]
	v_mul_f64 v[180:181], v[110:111], s[34:35]
	v_add_f64 v[49:50], v[49:50], v[30:31]
	v_fma_f64 v[150:151], v[148:149], s[22:23], v[152:153]
	v_fma_f64 v[152:153], v[148:149], s[22:23], -v[152:153]
	v_fma_f64 v[172:173], v[148:149], s[42:43], v[126:127]
	v_fma_f64 v[126:127], v[148:149], s[42:43], -v[126:127]
	;; [unrolled: 2-line block ×3, first 2 shown]
	v_mul_f64 v[148:149], v[90:91], s[30:31]
	v_add_f64 v[77:78], v[158:159], v[77:78]
	v_mul_f64 v[158:159], v[90:91], s[50:51]
	v_add_f64 v[61:62], v[92:93], v[61:62]
	;; [unrolled: 2-line block ×3, first 2 shown]
	v_mul_f64 v[94:95], v[90:91], s[12:13]
	v_mul_f64 v[46:47], v[110:111], s[16:17]
	v_add_f64 v[104:105], v[160:161], v[104:105]
	v_mul_f64 v[160:161], v[90:91], s[20:21]
	v_add_f64 v[73:74], v[108:109], v[73:74]
	;; [unrolled: 2-line block ×3, first 2 shown]
	v_add_f64 v[116:117], v[120:121], v[116:117]
	v_mul_f64 v[120:121], v[90:91], s[28:29]
	v_add_f64 v[79:80], v[114:115], v[79:80]
	v_mul_f64 v[114:115], v[90:91], s[8:9]
	v_mul_f64 v[89:90], v[90:91], s[36:37]
	v_add_f64 v[38:39], v[42:43], v[38:39]
	v_mul_f64 v[132:133], v[110:111], s[10:11]
	v_add_f64 v[138:139], v[162:163], v[138:139]
	v_add_f64 v[85:86], v[154:155], v[85:86]
	;; [unrolled: 1-line block ×3, first 2 shown]
	v_mul_f64 v[106:107], v[110:111], s[22:23]
	v_add_f64 v[75:76], v[112:113], v[75:76]
	v_mul_f64 v[112:113], v[110:111], s[52:53]
	v_add_f64 v[118:119], v[122:123], v[118:119]
	v_mul_f64 v[122:123], v[110:111], s[26:27]
	v_mul_f64 v[110:111], v[110:111], s[42:43]
	v_add_f64 v[140:141], v[164:165], v[140:141]
	v_fma_f64 v[162:163], v[44:45], s[38:39], v[180:181]
	v_add_f64 v[36:37], v[49:50], v[36:37]
	v_add_f64 v[136:137], v[150:151], v[136:137]
	;; [unrolled: 1-line block ×7, first 2 shown]
	v_fma_f64 v[150:151], v[87:88], s[34:35], v[148:149]
	v_fma_f64 v[148:149], v[87:88], s[34:35], -v[148:149]
	v_add_f64 v[144:145], v[174:175], v[146:147]
	v_add_f64 v[100:101], v[126:127], v[100:101]
	;; [unrolled: 1-line block ×4, first 2 shown]
	v_fma_f64 v[42:43], v[44:45], s[30:31], v[180:181]
	v_fma_f64 v[49:50], v[87:88], s[48:49], v[158:159]
	;; [unrolled: 1-line block ×3, first 2 shown]
	v_fma_f64 v[146:147], v[87:88], s[48:49], -v[158:159]
	v_fma_f64 v[91:92], v[44:45], s[50:51], v[92:93]
	v_fma_f64 v[152:153], v[87:88], s[16:17], v[94:95]
	;; [unrolled: 1-line block ×3, first 2 shown]
	v_fma_f64 v[93:94], v[87:88], s[16:17], -v[94:95]
	v_fma_f64 v[46:47], v[44:45], s[12:13], v[46:47]
	v_fma_f64 v[156:157], v[87:88], s[22:23], v[160:161]
	v_fma_f64 v[160:161], v[87:88], s[22:23], -v[160:161]
	v_fma_f64 v[164:165], v[87:88], s[52:53], v[108:109]
	v_fma_f64 v[108:109], v[87:88], s[52:53], -v[108:109]
	;; [unrolled: 2-line block ×5, first 2 shown]
	v_add_f64 v[89:90], v[22:23], v[30:31]
	v_add_f64 v[22:23], v[22:23], -v[30:31]
	v_add_f64 v[30:31], v[20:21], v[26:27]
	v_add_f64 v[20:21], v[20:21], -v[26:27]
	v_mul_f64 v[26:27], v[168:169], s[42:43]
	v_add_f64 v[32:33], v[38:39], v[32:33]
	v_add_f64 v[102:103], v[166:167], v[102:103]
	v_fma_f64 v[158:159], v[44:45], s[18:19], v[106:107]
	v_fma_f64 v[106:107], v[44:45], s[20:21], v[106:107]
	;; [unrolled: 1-line block ×10, first 2 shown]
	v_add_f64 v[110:111], v[24:25], -v[28:29]
	v_add_f64 v[24:25], v[24:25], v[28:29]
	v_mul_f64 v[28:29], v[40:41], s[36:37]
	v_add_f64 v[34:35], v[36:37], v[34:35]
	v_mul_f64 v[36:37], v[40:41], s[38:39]
	v_mul_f64 v[38:39], v[168:169], s[34:35]
	v_add_f64 v[51:52], v[134:135], v[51:52]
	v_mul_f64 v[134:135], v[40:41], s[8:9]
	v_add_f64 v[63:64], v[162:163], v[63:64]
	v_mul_f64 v[162:163], v[168:169], s[48:49]
	v_add_f64 v[59:60], v[150:151], v[59:60]
	v_mul_f64 v[150:151], v[40:41], s[40:41]
	v_add_f64 v[55:56], v[148:149], v[55:56]
	v_mul_f64 v[148:149], v[40:41], s[28:29]
	v_add_f64 v[42:43], v[42:43], v[57:58]
	v_add_f64 v[46:47], v[46:47], v[75:76]
	v_add_f64 v[53:54], v[65:66], v[53:54]
	v_mul_f64 v[65:66], v[168:169], s[10:11]
	v_mul_f64 v[57:58], v[168:169], s[26:27]
	v_add_f64 v[49:50], v[49:50], v[69:70]
	v_mul_f64 v[69:70], v[40:41], s[14:15]
	v_add_f64 v[77:78], v[130:131], v[77:78]
	;; [unrolled: 2-line block ×3, first 2 shown]
	v_mul_f64 v[146:147], v[40:41], s[46:47]
	v_fma_f64 v[75:76], v[22:23], s[44:45], v[26:27]
	v_fma_f64 v[26:27], v[22:23], s[36:37], v[26:27]
	v_add_f64 v[16:17], v[32:33], v[16:17]
	v_add_f64 v[71:72], v[91:92], v[71:72]
	v_mul_f64 v[91:92], v[168:169], s[52:53]
	v_mul_f64 v[40:41], v[40:41], s[18:19]
	v_add_f64 v[104:105], v[152:153], v[104:105]
	v_add_f64 v[73:74], v[93:94], v[73:74]
	;; [unrolled: 1-line block ×5, first 2 shown]
	v_mul_f64 v[168:169], v[168:169], s[22:23]
	v_add_f64 v[79:80], v[160:161], v[79:80]
	v_add_f64 v[67:68], v[154:155], v[67:68]
	v_mul_f64 v[154:155], v[24:25], s[48:49]
	v_fma_f64 v[93:94], v[89:90], s[42:43], v[28:29]
	v_fma_f64 v[28:29], v[89:90], s[42:43], -v[28:29]
	v_add_f64 v[18:19], v[34:35], v[18:19]
	v_fma_f64 v[34:35], v[89:90], s[34:35], v[36:37]
	v_fma_f64 v[32:33], v[22:23], s[30:31], v[38:39]
	v_fma_f64 v[36:37], v[89:90], s[34:35], -v[36:37]
	v_fma_f64 v[38:39], v[22:23], s[38:39], v[38:39]
	v_fma_f64 v[156:157], v[89:90], s[10:11], v[134:135]
	;; [unrolled: 1-line block ×4, first 2 shown]
	v_fma_f64 v[134:135], v[89:90], s[10:11], -v[134:135]
	v_add_f64 v[136:137], v[164:165], v[136:137]
	v_fma_f64 v[164:165], v[89:90], s[26:27], v[148:149]
	v_mul_f64 v[152:153], v[110:111], s[40:41]
	v_add_f64 v[138:139], v[166:167], v[138:139]
	v_fma_f64 v[158:159], v[22:23], s[0:1], v[65:66]
	v_fma_f64 v[65:66], v[22:23], s[8:9], v[65:66]
	;; [unrolled: 1-line block ×3, first 2 shown]
	v_add_f64 v[83:84], v[108:109], v[83:84]
	v_add_f64 v[85:86], v[112:113], v[85:86]
	;; [unrolled: 1-line block ×9, first 2 shown]
	v_mul_f64 v[26:27], v[24:25], s[22:23]
	v_add_f64 v[101:102], v[132:133], v[102:103]
	v_add_f64 v[114:115], v[178:179], v[126:127]
	;; [unrolled: 1-line block ×3, first 2 shown]
	v_fma_f64 v[42:43], v[89:90], s[26:27], -v[148:149]
	v_fma_f64 v[162:163], v[22:23], s[40:41], v[162:163]
	v_add_f64 v[51:52], v[87:88], v[51:52]
	v_fma_f64 v[150:151], v[89:90], s[48:49], -v[150:151]
	v_add_f64 v[120:121], v[174:175], v[124:125]
	v_add_f64 v[124:125], v[180:181], v[128:129]
	v_fma_f64 v[128:129], v[20:21], s[50:51], v[154:155]
	v_add_f64 v[53:54], v[93:94], v[59:60]
	v_add_f64 v[59:60], v[75:76], v[63:64]
	;; [unrolled: 1-line block ×4, first 2 shown]
	v_mul_f64 v[18:19], v[110:111], s[18:19]
	v_add_f64 v[34:35], v[34:35], v[49:50]
	v_add_f64 v[32:33], v[32:33], v[77:78]
	v_fma_f64 v[49:50], v[22:23], s[28:29], v[57:58]
	v_mul_f64 v[55:56], v[110:111], s[24:25]
	v_mul_f64 v[57:58], v[24:25], s[26:27]
	v_add_f64 v[36:37], v[36:37], v[61:62]
	v_add_f64 v[38:39], v[38:39], v[71:72]
	v_fma_f64 v[61:62], v[89:90], s[16:17], v[69:70]
	v_fma_f64 v[63:64], v[22:23], s[12:13], v[130:131]
	v_add_f64 v[71:72], v[156:157], v[104:105]
	v_fma_f64 v[69:70], v[89:90], s[16:17], -v[69:70]
	v_fma_f64 v[75:76], v[22:23], s[14:15], v[130:131]
	v_fma_f64 v[77:78], v[22:23], s[54:55], v[91:92]
	v_add_f64 v[93:94], v[106:107], v[118:119]
	v_fma_f64 v[91:92], v[22:23], s[46:47], v[91:92]
	v_fma_f64 v[105:106], v[89:90], s[22:23], v[40:41]
	v_add_f64 v[87:88], v[160:161], v[116:117]
	v_fma_f64 v[116:117], v[22:23], s[20:21], v[168:169]
	v_fma_f64 v[22:23], v[22:23], s[18:19], v[168:169]
	v_mul_f64 v[130:131], v[110:111], s[44:45]
	v_add_f64 v[73:74], v[134:135], v[73:74]
	v_add_f64 v[118:119], v[164:165], v[136:137]
	v_fma_f64 v[134:135], v[20:21], s[40:41], v[154:155]
	v_mul_f64 v[136:137], v[24:25], s[42:43]
	v_fma_f64 v[40:41], v[89:90], s[22:23], -v[40:41]
	v_fma_f64 v[126:127], v[30:31], s[48:49], v[152:153]
	v_fma_f64 v[140:141], v[20:21], s[20:21], v[26:27]
	;; [unrolled: 1-line block ×3, first 2 shown]
	v_add_f64 v[122:123], v[176:177], v[144:145]
	v_add_f64 v[67:68], v[158:159], v[67:68]
	;; [unrolled: 1-line block ×3, first 2 shown]
	v_fma_f64 v[65:66], v[89:90], s[52:53], v[146:147]
	v_fma_f64 v[103:104], v[89:90], s[52:53], -v[146:147]
	v_add_f64 v[89:90], v[166:167], v[138:139]
	v_add_f64 v[42:43], v[42:43], v[83:84]
	v_mul_f64 v[142:143], v[110:111], s[8:9]
	v_mul_f64 v[144:145], v[24:25], s[10:11]
	v_fma_f64 v[138:139], v[30:31], s[22:23], v[18:19]
	v_fma_f64 v[18:19], v[30:31], s[22:23], -v[18:19]
	v_fma_f64 v[132:133], v[30:31], s[48:49], -v[152:153]
	v_add_f64 v[49:50], v[49:50], v[85:86]
	v_fma_f64 v[83:84], v[30:31], s[26:27], v[55:56]
	v_fma_f64 v[85:86], v[20:21], s[28:29], v[57:58]
	v_add_f64 v[79:80], v[150:151], v[79:80]
	v_add_f64 v[81:82], v[162:163], v[81:82]
	;; [unrolled: 1-line block ×4, first 2 shown]
	v_mul_f64 v[107:108], v[110:111], s[46:47]
	v_mul_f64 v[112:113], v[24:25], s[52:53]
	v_add_f64 v[69:70], v[69:70], v[95:96]
	v_add_f64 v[75:76], v[75:76], v[97:98]
	v_mul_f64 v[95:96], v[110:111], s[12:13]
	v_mul_f64 v[97:98], v[24:25], s[16:17]
	;; [unrolled: 1-line block ×4, first 2 shown]
	v_add_f64 v[91:92], v[91:92], v[101:102]
	v_add_f64 v[101:102], v[105:106], v[114:115]
	v_add_f64 v[105:106], v[8:9], -v[10:11]
	v_add_f64 v[8:9], v[8:9], v[10:11]
	v_fma_f64 v[10:11], v[30:31], s[26:27], -v[55:56]
	v_add_f64 v[22:23], v[22:23], v[44:45]
	v_fma_f64 v[44:45], v[20:21], s[24:25], v[57:58]
	v_fma_f64 v[55:56], v[30:31], s[42:43], v[130:131]
	v_add_f64 v[57:58], v[134:135], v[16:17]
	v_fma_f64 v[16:17], v[20:21], s[36:37], v[136:137]
	v_add_f64 v[40:41], v[40:41], v[51:52]
	v_add_f64 v[51:52], v[126:127], v[53:54]
	;; [unrolled: 1-line block ×3, first 2 shown]
	v_fma_f64 v[59:60], v[30:31], s[42:43], -v[130:131]
	v_add_f64 v[114:115], v[26:27], v[38:39]
	v_fma_f64 v[26:27], v[20:21], s[44:45], v[136:137]
	v_add_f64 v[65:66], v[65:66], v[120:121]
	v_add_f64 v[77:78], v[77:78], v[122:123]
	;; [unrolled: 1-line block ×10, first 2 shown]
	v_fma_f64 v[67:68], v[30:31], s[10:11], v[142:143]
	v_fma_f64 v[71:72], v[20:21], s[0:1], v[144:145]
	v_fma_f64 v[83:84], v[30:31], s[10:11], -v[142:143]
	v_fma_f64 v[85:86], v[20:21], s[8:9], v[144:145]
	v_fma_f64 v[116:117], v[30:31], s[52:53], v[107:108]
	v_fma_f64 v[120:121], v[20:21], s[54:55], v[112:113]
	v_fma_f64 v[107:108], v[30:31], s[52:53], -v[107:108]
	v_fma_f64 v[111:112], v[20:21], s[46:47], v[112:113]
	;; [unrolled: 4-line block ×4, first 2 shown]
	v_add_f64 v[24:25], v[4:5], v[6:7]
	v_add_f64 v[4:5], v[4:5], -v[6:7]
	v_mul_f64 v[6:7], v[105:106], s[46:47]
	v_mul_f64 v[109:110], v[8:9], s[52:53]
	v_add_f64 v[73:74], v[10:11], v[73:74]
	v_mul_f64 v[10:11], v[105:106], s[0:1]
	v_mul_f64 v[130:131], v[8:9], s[10:11]
	v_add_f64 v[46:47], v[44:45], v[46:47]
	v_mul_f64 v[44:45], v[105:106], s[40:41]
	v_mul_f64 v[132:133], v[8:9], s[48:49]
	v_add_f64 v[55:56], v[55:56], v[87:88]
	v_mul_f64 v[87:88], v[105:106], s[12:13]
	v_mul_f64 v[134:135], v[8:9], s[16:17]
	v_add_f64 v[93:94], v[16:17], v[93:94]
	v_mul_f64 v[16:17], v[105:106], s[36:37]
	v_mul_f64 v[136:137], v[8:9], s[42:43]
	v_add_f64 v[59:60], v[59:60], v[79:80]
	v_mul_f64 v[79:80], v[105:106], s[18:19]
	v_mul_f64 v[138:139], v[8:9], s[22:23]
	v_add_f64 v[140:141], v[26:27], v[81:82]
	v_mul_f64 v[26:27], v[105:106], s[30:31]
	v_mul_f64 v[81:82], v[8:9], s[34:35]
	;; [unrolled: 1-line block ×4, first 2 shown]
	v_add_f64 v[71:72], v[71:72], v[89:90]
	v_add_f64 v[42:43], v[83:84], v[42:43]
	v_add_f64 v[84:85], v[85:86], v[49:50]
	v_add_f64 v[49:50], v[116:117], v[61:62]
	v_add_f64 v[61:62], v[120:121], v[63:64]
	v_add_f64 v[89:90], v[111:112], v[75:76]
	v_add_f64 v[63:64], v[107:108], v[69:70]
	v_add_f64 v[75:76], v[124:125], v[77:78]
	v_add_f64 v[77:78], v[95:96], v[99:100]
	v_add_f64 v[67:68], v[67:68], v[118:119]
	v_add_f64 v[95:96], v[126:127], v[101:102]
	v_add_f64 v[65:66], v[122:123], v[65:66]
	v_add_f64 v[99:100], v[30:31], v[40:41]
	v_add_f64 v[20:21], v[20:21], v[22:23]
	v_add_f64 v[91:92], v[97:98], v[91:92]
	v_add_f64 v[97:98], v[128:129], v[103:104]
	v_fma_f64 v[22:23], v[24:25], s[52:53], v[6:7]
	v_fma_f64 v[30:31], v[4:5], s[54:55], v[109:110]
	v_fma_f64 v[40:41], v[24:25], s[52:53], -v[6:7]
	v_fma_f64 v[69:70], v[24:25], s[10:11], v[10:11]
	v_fma_f64 v[101:102], v[4:5], s[8:9], v[130:131]
	v_fma_f64 v[103:104], v[24:25], s[10:11], -v[10:11]
	;; [unrolled: 3-line block ×8, first 2 shown]
	v_fma_f64 v[152:153], v[4:5], s[28:29], v[8:9]
	v_fma_f64 v[154:155], v[4:5], s[30:31], v[81:82]
	;; [unrolled: 1-line block ×8, first 2 shown]
	v_add_f64 v[2:3], v[14:15], v[2:3]
	v_add_f64 v[4:5], v[12:13], v[0:1]
	s_mov_b32 s0, 0x2e50bc4c
	s_mov_b32 s1, 0x3f40329e
	v_add_f64 v[6:7], v[22:23], v[51:52]
	v_add_f64 v[8:9], v[30:31], v[53:54]
	;; [unrolled: 1-line block ×32, first 2 shown]
	ds_store_b128 v48, v[2:5]
	ds_store_b128 v48, v[6:9] offset:1904
	ds_store_b128 v48, v[14:17] offset:3808
	;; [unrolled: 1-line block ×16, first 2 shown]
	s_waitcnt lgkmcnt(0)
	s_barrier
	buffer_gl0_inv
	ds_load_b128 v[0:3], v48
	ds_load_b128 v[4:7], v48 offset:1904
	s_clause 0x2
	scratch_load_b128 v[22:25], off, off offset:172
	scratch_load_b128 v[52:55], off, off offset:140
	;; [unrolled: 1-line block ×3, first 2 shown]
	ds_load_b128 v[8:11], v48 offset:3808
	s_waitcnt vmcnt(2) lgkmcnt(2)
	v_mul_f64 v[12:13], v[24:25], v[2:3]
	v_mul_f64 v[14:15], v[24:25], v[0:1]
	s_waitcnt vmcnt(0) lgkmcnt(1)
	v_mul_f64 v[16:17], v[28:29], v[6:7]
	v_mul_f64 v[18:19], v[28:29], v[4:5]
	s_delay_alu instid0(VALU_DEP_4) | instskip(NEXT) | instid1(VALU_DEP_4)
	v_fma_f64 v[20:21], v[22:23], v[0:1], v[12:13]
	v_fma_f64 v[22:23], v[22:23], v[2:3], -v[14:15]
	ds_load_b128 v[0:3], v48 offset:5712
	v_fma_f64 v[24:25], v[26:27], v[4:5], v[16:17]
	v_fma_f64 v[26:27], v[26:27], v[6:7], -v[18:19]
	s_waitcnt lgkmcnt(1)
	v_mul_f64 v[28:29], v[54:55], v[10:11]
	v_mul_f64 v[30:31], v[54:55], v[8:9]
	ds_load_b128 v[4:7], v48 offset:7616
	ds_load_b128 v[12:15], v48 offset:9520
	s_clause 0x3
	scratch_load_b128 v[54:57], off, off offset:204
	scratch_load_b64 v[16:17], off, off offset:64
	scratch_load_b32 v51, off, off offset:72
	scratch_load_b128 v[60:63], off, off offset:268
	s_waitcnt vmcnt(3) lgkmcnt(2)
	v_mul_f64 v[36:37], v[56:57], v[2:3]
	v_mul_f64 v[38:39], v[56:57], v[0:1]
	scratch_load_b128 v[56:59], off, off offset:188 ; 16-byte Folded Reload
	s_waitcnt vmcnt(3)
	v_mov_b32_e32 v19, v16
	s_waitcnt vmcnt(2)
	v_mad_u64_u32 v[34:35], null, s4, v51, 0
	s_waitcnt vmcnt(1) lgkmcnt(0)
	v_mul_f64 v[44:45], v[62:63], v[14:15]
	v_mul_f64 v[46:47], v[62:63], v[12:13]
	v_mad_u64_u32 v[32:33], null, s6, v19, 0
	s_delay_alu instid0(VALU_DEP_1) | instskip(NEXT) | instid1(VALU_DEP_1)
	v_mov_b32_e32 v16, v33
	v_mad_u64_u32 v[17:18], null, s7, v19, v[16:17]
	v_mov_b32_e32 v16, v35
	v_mul_f64 v[18:19], v[22:23], s[0:1]
	v_mul_f64 v[22:23], v[26:27], s[0:1]
	v_fma_f64 v[26:27], v[52:53], v[10:11], -v[30:31]
	v_mov_b32_e32 v33, v17
	v_mad_u64_u32 v[49:50], null, s5, v51, v[16:17]
	v_mul_f64 v[16:17], v[20:21], s[0:1]
	v_mul_f64 v[20:21], v[24:25], s[0:1]
	v_fma_f64 v[24:25], v[52:53], v[8:9], v[28:29]
	v_lshlrev_b64 v[8:9], 4, v[32:33]
	v_mov_b32_e32 v35, v49
	v_fma_f64 v[49:50], v[54:55], v[0:1], v[36:37]
	v_fma_f64 v[52:53], v[54:55], v[2:3], -v[38:39]
	s_delay_alu instid0(VALU_DEP_4) | instskip(NEXT) | instid1(VALU_DEP_4)
	v_add_co_u32 v8, vcc_lo, s2, v8
	v_lshlrev_b64 v[10:11], 4, v[34:35]
	v_add_co_ci_u32_e32 v9, vcc_lo, s3, v9, vcc_lo
	s_mul_i32 s2, s5, 0x770
	s_mul_hi_u32 s3, s4, 0x770
	ds_load_b128 v[0:3], v48 offset:11424
	v_add_co_u32 v28, vcc_lo, v8, v10
	v_add_co_ci_u32_e32 v29, vcc_lo, v9, v11, vcc_lo
	ds_load_b128 v[8:11], v48 offset:13328
	s_add_i32 s2, s3, s2
	s_mul_i32 s3, s4, 0x770
	s_delay_alu instid0(SALU_CYCLE_1) | instskip(SKIP_1) | instid1(VALU_DEP_2)
	v_add_co_u32 v32, vcc_lo, v28, s3
	v_add_co_ci_u32_e32 v33, vcc_lo, s2, v29, vcc_lo
	v_add_co_u32 v70, vcc_lo, v32, s3
	s_delay_alu instid0(VALU_DEP_2)
	v_add_co_ci_u32_e32 v71, vcc_lo, s2, v33, vcc_lo
	s_waitcnt vmcnt(0)
	v_mul_f64 v[40:41], v[58:59], v[6:7]
	v_mul_f64 v[42:43], v[58:59], v[4:5]
	v_fma_f64 v[58:59], v[60:61], v[12:13], v[44:45]
	v_fma_f64 v[60:61], v[60:61], v[14:15], -v[46:47]
	v_mul_f64 v[12:13], v[24:25], s[0:1]
	v_mul_f64 v[14:15], v[26:27], s[0:1]
	;; [unrolled: 1-line block ×4, first 2 shown]
	v_fma_f64 v[54:55], v[56:57], v[4:5], v[40:41]
	v_fma_f64 v[56:57], v[56:57], v[6:7], -v[42:43]
	ds_load_b128 v[4:7], v48 offset:15232
	s_clause 0x1
	global_store_b128 v[28:29], v[16:19], off
	global_store_b128 v[32:33], v[20:23], off
	scratch_load_b128 v[106:109], off, off offset:76 ; 16-byte Folded Reload
	ds_load_b128 v[16:19], v48 offset:17136
	ds_load_b128 v[20:23], v48 offset:19040
	v_mul_f64 v[52:53], v[54:55], s[0:1]
	v_mul_f64 v[54:55], v[56:57], s[0:1]
	v_mul_f64 v[56:57], v[58:59], s[0:1]
	v_mul_f64 v[58:59], v[60:61], s[0:1]
	s_waitcnt vmcnt(0) lgkmcnt(4)
	v_mul_f64 v[62:63], v[108:109], v[2:3]
	v_mul_f64 v[64:65], v[108:109], v[0:1]
	scratch_load_b128 v[108:111], off, off offset:92 ; 16-byte Folded Reload
	ds_load_b128 v[24:27], v48 offset:20944
	ds_load_b128 v[28:31], v48 offset:22848
	;; [unrolled: 1-line block ×6, first 2 shown]
	v_fma_f64 v[0:1], v[106:107], v[0:1], v[62:63]
	v_fma_f64 v[2:3], v[106:107], v[2:3], -v[64:65]
	v_add_co_u32 v62, vcc_lo, v70, s3
	v_add_co_ci_u32_e32 v63, vcc_lo, s2, v71, vcc_lo
	s_delay_alu instid0(VALU_DEP_2) | instskip(NEXT) | instid1(VALU_DEP_2)
	v_add_co_u32 v64, vcc_lo, v62, s3
	v_add_co_ci_u32_e32 v65, vcc_lo, s2, v63, vcc_lo
	v_mul_f64 v[0:1], v[0:1], s[0:1]
	v_mul_f64 v[2:3], v[2:3], s[0:1]
	s_waitcnt vmcnt(0) lgkmcnt(9)
	v_mul_f64 v[66:67], v[110:111], v[10:11]
	v_mul_f64 v[68:69], v[110:111], v[8:9]
	scratch_load_b128 v[110:113], off, off offset:108 ; 16-byte Folded Reload
	v_fma_f64 v[8:9], v[108:109], v[8:9], v[66:67]
	v_fma_f64 v[10:11], v[108:109], v[10:11], -v[68:69]
	s_waitcnt vmcnt(0) lgkmcnt(8)
	v_mul_f64 v[72:73], v[112:113], v[6:7]
	v_mul_f64 v[74:75], v[112:113], v[4:5]
	scratch_load_b128 v[112:115], off, off offset:124 ; 16-byte Folded Reload
	v_fma_f64 v[66:67], v[110:111], v[4:5], v[72:73]
	v_fma_f64 v[68:69], v[110:111], v[6:7], -v[74:75]
	v_add_co_u32 v4, vcc_lo, v64, s3
	v_add_co_ci_u32_e32 v5, vcc_lo, s2, v65, vcc_lo
	v_mul_f64 v[6:7], v[10:11], s[0:1]
	s_delay_alu instid0(VALU_DEP_4)
	v_mul_f64 v[10:11], v[68:69], s[0:1]
	s_waitcnt vmcnt(0) lgkmcnt(7)
	v_mul_f64 v[76:77], v[114:115], v[18:19]
	v_mul_f64 v[78:79], v[114:115], v[16:17]
	scratch_load_b128 v[114:117], off, off offset:156 ; 16-byte Folded Reload
	v_fma_f64 v[16:17], v[112:113], v[16:17], v[76:77]
	v_fma_f64 v[18:19], v[112:113], v[18:19], -v[78:79]
	s_waitcnt vmcnt(0) lgkmcnt(6)
	v_mul_f64 v[80:81], v[116:117], v[22:23]
	v_mul_f64 v[82:83], v[116:117], v[20:21]
	scratch_load_b128 v[116:119], off, off offset:220 ; 16-byte Folded Reload
	v_fma_f64 v[20:21], v[114:115], v[20:21], v[80:81]
	v_fma_f64 v[22:23], v[114:115], v[22:23], -v[82:83]
	;; [unrolled: 6-line block ×6, first 2 shown]
	s_waitcnt vmcnt(0) lgkmcnt(1)
	v_mul_f64 v[98:99], v[126:127], v[42:43]
	v_mul_f64 v[100:101], v[126:127], v[40:41]
	scratch_load_b128 v[126:129], off, off offset:332 ; 16-byte Folded Reload
	s_clause 0x2
	global_store_b128 v[70:71], v[12:15], off
	global_store_b128 v[62:63], v[44:47], off
	global_store_b128 v[64:65], v[52:55], off
	global_store_b128 v[4:5], v[56:59], off
	v_mul_f64 v[12:13], v[16:17], s[0:1]
	v_mul_f64 v[14:15], v[18:19], s[0:1]
	;; [unrolled: 1-line block ×12, first 2 shown]
	v_fma_f64 v[40:41], v[124:125], v[40:41], v[98:99]
	v_fma_f64 v[42:43], v[124:125], v[42:43], -v[100:101]
	s_delay_alu instid0(VALU_DEP_2) | instskip(NEXT) | instid1(VALU_DEP_2)
	v_mul_f64 v[36:37], v[40:41], s[0:1]
	v_mul_f64 v[38:39], v[42:43], s[0:1]
	s_waitcnt vmcnt(0) lgkmcnt(0)
	v_mul_f64 v[102:103], v[128:129], v[50:51]
	v_mul_f64 v[104:105], v[128:129], v[48:49]
	s_delay_alu instid0(VALU_DEP_2) | instskip(NEXT) | instid1(VALU_DEP_2)
	v_fma_f64 v[44:45], v[126:127], v[48:49], v[102:103]
	v_fma_f64 v[46:47], v[126:127], v[50:51], -v[104:105]
	v_add_co_u32 v48, vcc_lo, v4, s3
	v_add_co_ci_u32_e32 v49, vcc_lo, s2, v5, vcc_lo
	v_mul_f64 v[4:5], v[8:9], s[0:1]
	s_delay_alu instid0(VALU_DEP_3) | instskip(NEXT) | instid1(VALU_DEP_3)
	v_add_co_u32 v50, vcc_lo, v48, s3
	v_add_co_ci_u32_e32 v51, vcc_lo, s2, v49, vcc_lo
	v_mul_f64 v[8:9], v[66:67], s[0:1]
	s_delay_alu instid0(VALU_DEP_3) | instskip(NEXT) | instid1(VALU_DEP_3)
	v_add_co_u32 v52, vcc_lo, v50, s3
	v_add_co_ci_u32_e32 v53, vcc_lo, s2, v51, vcc_lo
	global_store_b128 v[48:49], v[0:3], off
	v_add_co_u32 v54, vcc_lo, v52, s3
	v_add_co_ci_u32_e32 v55, vcc_lo, s2, v53, vcc_lo
	v_mul_f64 v[40:41], v[44:45], s[0:1]
	v_mul_f64 v[42:43], v[46:47], s[0:1]
	s_delay_alu instid0(VALU_DEP_4) | instskip(NEXT) | instid1(VALU_DEP_4)
	v_add_co_u32 v44, vcc_lo, v54, s3
	v_add_co_ci_u32_e32 v45, vcc_lo, s2, v55, vcc_lo
	global_store_b128 v[50:51], v[4:7], off
	v_add_co_u32 v0, vcc_lo, v44, s3
	v_add_co_ci_u32_e32 v1, vcc_lo, s2, v45, vcc_lo
	global_store_b128 v[52:53], v[8:11], off
	;; [unrolled: 3-line block ×5, first 2 shown]
	v_add_co_u32 v8, vcc_lo, v6, s3
	v_add_co_ci_u32_e32 v9, vcc_lo, s2, v7, vcc_lo
	s_delay_alu instid0(VALU_DEP_2) | instskip(NEXT) | instid1(VALU_DEP_2)
	v_add_co_u32 v0, vcc_lo, v8, s3
	v_add_co_ci_u32_e32 v1, vcc_lo, s2, v9, vcc_lo
	global_store_b128 v[2:3], v[24:27], off
	global_store_b128 v[4:5], v[28:31], off
	;; [unrolled: 1-line block ×5, first 2 shown]
.LBB0_10:
	s_nop 0
	s_sendmsg sendmsg(MSG_DEALLOC_VGPRS)
	s_endpgm
	.section	.rodata,"a",@progbits
	.p2align	6, 0x0
	.amdhsa_kernel bluestein_single_back_len2023_dim1_dp_op_CI_CI
		.amdhsa_group_segment_fixed_size 32368
		.amdhsa_private_segment_fixed_size 448
		.amdhsa_kernarg_size 104
		.amdhsa_user_sgpr_count 15
		.amdhsa_user_sgpr_dispatch_ptr 0
		.amdhsa_user_sgpr_queue_ptr 0
		.amdhsa_user_sgpr_kernarg_segment_ptr 1
		.amdhsa_user_sgpr_dispatch_id 0
		.amdhsa_user_sgpr_private_segment_size 0
		.amdhsa_wavefront_size32 1
		.amdhsa_uses_dynamic_stack 0
		.amdhsa_enable_private_segment 1
		.amdhsa_system_sgpr_workgroup_id_x 1
		.amdhsa_system_sgpr_workgroup_id_y 0
		.amdhsa_system_sgpr_workgroup_id_z 0
		.amdhsa_system_sgpr_workgroup_info 0
		.amdhsa_system_vgpr_workitem_id 0
		.amdhsa_next_free_vgpr 256
		.amdhsa_next_free_sgpr 58
		.amdhsa_reserve_vcc 1
		.amdhsa_float_round_mode_32 0
		.amdhsa_float_round_mode_16_64 0
		.amdhsa_float_denorm_mode_32 3
		.amdhsa_float_denorm_mode_16_64 3
		.amdhsa_dx10_clamp 1
		.amdhsa_ieee_mode 1
		.amdhsa_fp16_overflow 0
		.amdhsa_workgroup_processor_mode 1
		.amdhsa_memory_ordered 1
		.amdhsa_forward_progress 0
		.amdhsa_shared_vgpr_count 0
		.amdhsa_exception_fp_ieee_invalid_op 0
		.amdhsa_exception_fp_denorm_src 0
		.amdhsa_exception_fp_ieee_div_zero 0
		.amdhsa_exception_fp_ieee_overflow 0
		.amdhsa_exception_fp_ieee_underflow 0
		.amdhsa_exception_fp_ieee_inexact 0
		.amdhsa_exception_int_div_zero 0
	.end_amdhsa_kernel
	.text
.Lfunc_end0:
	.size	bluestein_single_back_len2023_dim1_dp_op_CI_CI, .Lfunc_end0-bluestein_single_back_len2023_dim1_dp_op_CI_CI
                                        ; -- End function
	.section	.AMDGPU.csdata,"",@progbits
; Kernel info:
; codeLenInByte = 39960
; NumSgprs: 60
; NumVgprs: 256
; ScratchSize: 448
; MemoryBound: 0
; FloatMode: 240
; IeeeMode: 1
; LDSByteSize: 32368 bytes/workgroup (compile time only)
; SGPRBlocks: 7
; VGPRBlocks: 31
; NumSGPRsForWavesPerEU: 60
; NumVGPRsForWavesPerEU: 256
; Occupancy: 4
; WaveLimiterHint : 1
; COMPUTE_PGM_RSRC2:SCRATCH_EN: 1
; COMPUTE_PGM_RSRC2:USER_SGPR: 15
; COMPUTE_PGM_RSRC2:TRAP_HANDLER: 0
; COMPUTE_PGM_RSRC2:TGID_X_EN: 1
; COMPUTE_PGM_RSRC2:TGID_Y_EN: 0
; COMPUTE_PGM_RSRC2:TGID_Z_EN: 0
; COMPUTE_PGM_RSRC2:TIDIG_COMP_CNT: 0
	.text
	.p2alignl 7, 3214868480
	.fill 96, 4, 3214868480
	.type	__hip_cuid_50dffef6c5f60b2b,@object ; @__hip_cuid_50dffef6c5f60b2b
	.section	.bss,"aw",@nobits
	.globl	__hip_cuid_50dffef6c5f60b2b
__hip_cuid_50dffef6c5f60b2b:
	.byte	0                               ; 0x0
	.size	__hip_cuid_50dffef6c5f60b2b, 1

	.ident	"AMD clang version 19.0.0git (https://github.com/RadeonOpenCompute/llvm-project roc-6.4.0 25133 c7fe45cf4b819c5991fe208aaa96edf142730f1d)"
	.section	".note.GNU-stack","",@progbits
	.addrsig
	.addrsig_sym __hip_cuid_50dffef6c5f60b2b
	.amdgpu_metadata
---
amdhsa.kernels:
  - .args:
      - .actual_access:  read_only
        .address_space:  global
        .offset:         0
        .size:           8
        .value_kind:     global_buffer
      - .actual_access:  read_only
        .address_space:  global
        .offset:         8
        .size:           8
        .value_kind:     global_buffer
      - .actual_access:  read_only
        .address_space:  global
        .offset:         16
        .size:           8
        .value_kind:     global_buffer
      - .actual_access:  read_only
        .address_space:  global
        .offset:         24
        .size:           8
        .value_kind:     global_buffer
      - .actual_access:  read_only
        .address_space:  global
        .offset:         32
        .size:           8
        .value_kind:     global_buffer
      - .offset:         40
        .size:           8
        .value_kind:     by_value
      - .address_space:  global
        .offset:         48
        .size:           8
        .value_kind:     global_buffer
      - .address_space:  global
        .offset:         56
        .size:           8
        .value_kind:     global_buffer
      - .address_space:  global
        .offset:         64
        .size:           8
        .value_kind:     global_buffer
      - .address_space:  global
        .offset:         72
        .size:           8
        .value_kind:     global_buffer
      - .offset:         80
        .size:           4
        .value_kind:     by_value
      - .address_space:  global
        .offset:         88
        .size:           8
        .value_kind:     global_buffer
      - .address_space:  global
        .offset:         96
        .size:           8
        .value_kind:     global_buffer
    .group_segment_fixed_size: 32368
    .kernarg_segment_align: 8
    .kernarg_segment_size: 104
    .language:       OpenCL C
    .language_version:
      - 2
      - 0
    .max_flat_workgroup_size: 119
    .name:           bluestein_single_back_len2023_dim1_dp_op_CI_CI
    .private_segment_fixed_size: 448
    .sgpr_count:     60
    .sgpr_spill_count: 0
    .symbol:         bluestein_single_back_len2023_dim1_dp_op_CI_CI.kd
    .uniform_work_group_size: 1
    .uses_dynamic_stack: false
    .vgpr_count:     256
    .vgpr_spill_count: 127
    .wavefront_size: 32
    .workgroup_processor_mode: 1
amdhsa.target:   amdgcn-amd-amdhsa--gfx1100
amdhsa.version:
  - 1
  - 2
...

	.end_amdgpu_metadata
